;; amdgpu-corpus repo=ROCm/rocFFT kind=compiled arch=gfx1030 opt=O3
	.text
	.amdgcn_target "amdgcn-amd-amdhsa--gfx1030"
	.amdhsa_code_object_version 6
	.protected	fft_rtc_back_len340_factors_17_2_10_wgs_102_tpt_34_halfLds_half_ip_CI_unitstride_sbrr_C2R_dirReg ; -- Begin function fft_rtc_back_len340_factors_17_2_10_wgs_102_tpt_34_halfLds_half_ip_CI_unitstride_sbrr_C2R_dirReg
	.globl	fft_rtc_back_len340_factors_17_2_10_wgs_102_tpt_34_halfLds_half_ip_CI_unitstride_sbrr_C2R_dirReg
	.p2align	8
	.type	fft_rtc_back_len340_factors_17_2_10_wgs_102_tpt_34_halfLds_half_ip_CI_unitstride_sbrr_C2R_dirReg,@function
fft_rtc_back_len340_factors_17_2_10_wgs_102_tpt_34_halfLds_half_ip_CI_unitstride_sbrr_C2R_dirReg: ; @fft_rtc_back_len340_factors_17_2_10_wgs_102_tpt_34_halfLds_half_ip_CI_unitstride_sbrr_C2R_dirReg
; %bb.0:
	s_load_dwordx4 s[8:11], s[4:5], 0x0
	v_mul_u32_u24_e32 v1, 0x788, v0
	s_clause 0x1
	s_load_dwordx2 s[2:3], s[4:5], 0x50
	s_load_dwordx2 s[12:13], s[4:5], 0x18
	v_mov_b32_e32 v5, 0
	v_mov_b32_e32 v3, 0
	;; [unrolled: 1-line block ×3, first 2 shown]
	v_lshrrev_b32_e32 v1, 16, v1
	v_mad_u64_u32 v[1:2], null, s6, 3, v[1:2]
	v_mov_b32_e32 v2, v5
	v_mov_b32_e32 v10, v2
	;; [unrolled: 1-line block ×3, first 2 shown]
	s_waitcnt lgkmcnt(0)
	v_cmp_lt_u64_e64 s0, s[10:11], 2
	s_and_b32 vcc_lo, exec_lo, s0
	s_cbranch_vccnz .LBB0_8
; %bb.1:
	s_load_dwordx2 s[0:1], s[4:5], 0x10
	v_mov_b32_e32 v3, 0
	v_mov_b32_e32 v8, v2
	s_add_u32 s6, s12, 8
	v_mov_b32_e32 v4, 0
	v_mov_b32_e32 v7, v1
	s_addc_u32 s7, s13, 0
	s_mov_b64 s[16:17], 1
	s_waitcnt lgkmcnt(0)
	s_add_u32 s14, s0, 8
	s_addc_u32 s15, s1, 0
.LBB0_2:                                ; =>This Inner Loop Header: Depth=1
	s_load_dwordx2 s[18:19], s[14:15], 0x0
                                        ; implicit-def: $vgpr9_vgpr10
	s_mov_b32 s0, exec_lo
	s_waitcnt lgkmcnt(0)
	v_or_b32_e32 v6, s19, v8
	v_cmpx_ne_u64_e32 0, v[5:6]
	s_xor_b32 s1, exec_lo, s0
	s_cbranch_execz .LBB0_4
; %bb.3:                                ;   in Loop: Header=BB0_2 Depth=1
	v_cvt_f32_u32_e32 v2, s18
	v_cvt_f32_u32_e32 v6, s19
	s_sub_u32 s0, 0, s18
	s_subb_u32 s20, 0, s19
	v_fmac_f32_e32 v2, 0x4f800000, v6
	v_rcp_f32_e32 v2, v2
	v_mul_f32_e32 v2, 0x5f7ffffc, v2
	v_mul_f32_e32 v6, 0x2f800000, v2
	v_trunc_f32_e32 v6, v6
	v_fmac_f32_e32 v2, 0xcf800000, v6
	v_cvt_u32_f32_e32 v6, v6
	v_cvt_u32_f32_e32 v2, v2
	v_mul_lo_u32 v9, s0, v6
	v_mul_hi_u32 v10, s0, v2
	v_mul_lo_u32 v11, s20, v2
	v_add_nc_u32_e32 v9, v10, v9
	v_mul_lo_u32 v10, s0, v2
	v_add_nc_u32_e32 v9, v9, v11
	v_mul_hi_u32 v11, v2, v10
	v_mul_lo_u32 v12, v2, v9
	v_mul_hi_u32 v13, v2, v9
	v_mul_hi_u32 v14, v6, v10
	v_mul_lo_u32 v10, v6, v10
	v_mul_hi_u32 v15, v6, v9
	v_mul_lo_u32 v9, v6, v9
	v_add_co_u32 v11, vcc_lo, v11, v12
	v_add_co_ci_u32_e32 v12, vcc_lo, 0, v13, vcc_lo
	v_add_co_u32 v10, vcc_lo, v11, v10
	v_add_co_ci_u32_e32 v10, vcc_lo, v12, v14, vcc_lo
	v_add_co_ci_u32_e32 v11, vcc_lo, 0, v15, vcc_lo
	v_add_co_u32 v9, vcc_lo, v10, v9
	v_add_co_ci_u32_e32 v10, vcc_lo, 0, v11, vcc_lo
	v_add_co_u32 v2, vcc_lo, v2, v9
	v_add_co_ci_u32_e32 v6, vcc_lo, v6, v10, vcc_lo
	v_mul_hi_u32 v9, s0, v2
	v_mul_lo_u32 v11, s20, v2
	v_mul_lo_u32 v10, s0, v6
	v_add_nc_u32_e32 v9, v9, v10
	v_mul_lo_u32 v10, s0, v2
	v_add_nc_u32_e32 v9, v9, v11
	v_mul_hi_u32 v11, v2, v10
	v_mul_lo_u32 v12, v2, v9
	v_mul_hi_u32 v13, v2, v9
	v_mul_hi_u32 v14, v6, v10
	v_mul_lo_u32 v10, v6, v10
	v_mul_hi_u32 v15, v6, v9
	v_mul_lo_u32 v9, v6, v9
	v_add_co_u32 v11, vcc_lo, v11, v12
	v_add_co_ci_u32_e32 v12, vcc_lo, 0, v13, vcc_lo
	v_add_co_u32 v10, vcc_lo, v11, v10
	v_add_co_ci_u32_e32 v10, vcc_lo, v12, v14, vcc_lo
	v_add_co_ci_u32_e32 v11, vcc_lo, 0, v15, vcc_lo
	v_add_co_u32 v9, vcc_lo, v10, v9
	v_add_co_ci_u32_e32 v10, vcc_lo, 0, v11, vcc_lo
	v_add_co_u32 v2, vcc_lo, v2, v9
	v_add_co_ci_u32_e32 v6, vcc_lo, v6, v10, vcc_lo
	v_mul_hi_u32 v15, v7, v2
	v_mad_u64_u32 v[11:12], null, v8, v2, 0
	v_mad_u64_u32 v[9:10], null, v7, v6, 0
	v_mad_u64_u32 v[13:14], null, v8, v6, 0
	v_add_co_u32 v2, vcc_lo, v15, v9
	v_add_co_ci_u32_e32 v6, vcc_lo, 0, v10, vcc_lo
	v_add_co_u32 v2, vcc_lo, v2, v11
	v_add_co_ci_u32_e32 v2, vcc_lo, v6, v12, vcc_lo
	v_add_co_ci_u32_e32 v6, vcc_lo, 0, v14, vcc_lo
	v_add_co_u32 v2, vcc_lo, v2, v13
	v_add_co_ci_u32_e32 v6, vcc_lo, 0, v6, vcc_lo
	v_mul_lo_u32 v11, s19, v2
	v_mad_u64_u32 v[9:10], null, s18, v2, 0
	v_mul_lo_u32 v12, s18, v6
	v_sub_co_u32 v9, vcc_lo, v7, v9
	v_add3_u32 v10, v10, v12, v11
	v_sub_nc_u32_e32 v11, v8, v10
	v_subrev_co_ci_u32_e64 v11, s0, s19, v11, vcc_lo
	v_add_co_u32 v12, s0, v2, 2
	v_add_co_ci_u32_e64 v13, s0, 0, v6, s0
	v_sub_co_u32 v14, s0, v9, s18
	v_sub_co_ci_u32_e32 v10, vcc_lo, v8, v10, vcc_lo
	v_subrev_co_ci_u32_e64 v11, s0, 0, v11, s0
	v_cmp_le_u32_e32 vcc_lo, s18, v14
	v_cmp_eq_u32_e64 s0, s19, v10
	v_cndmask_b32_e64 v14, 0, -1, vcc_lo
	v_cmp_le_u32_e32 vcc_lo, s19, v11
	v_cndmask_b32_e64 v15, 0, -1, vcc_lo
	v_cmp_le_u32_e32 vcc_lo, s18, v9
	;; [unrolled: 2-line block ×3, first 2 shown]
	v_cndmask_b32_e64 v16, 0, -1, vcc_lo
	v_cmp_eq_u32_e32 vcc_lo, s19, v11
	v_cndmask_b32_e64 v9, v16, v9, s0
	v_cndmask_b32_e32 v11, v15, v14, vcc_lo
	v_add_co_u32 v14, vcc_lo, v2, 1
	v_add_co_ci_u32_e32 v15, vcc_lo, 0, v6, vcc_lo
	v_cmp_ne_u32_e32 vcc_lo, 0, v11
	v_cndmask_b32_e32 v10, v15, v13, vcc_lo
	v_cndmask_b32_e32 v11, v14, v12, vcc_lo
	v_cmp_ne_u32_e32 vcc_lo, 0, v9
	v_cndmask_b32_e32 v10, v6, v10, vcc_lo
	v_cndmask_b32_e32 v9, v2, v11, vcc_lo
.LBB0_4:                                ;   in Loop: Header=BB0_2 Depth=1
	s_andn2_saveexec_b32 s0, s1
	s_cbranch_execz .LBB0_6
; %bb.5:                                ;   in Loop: Header=BB0_2 Depth=1
	v_cvt_f32_u32_e32 v2, s18
	s_sub_i32 s1, 0, s18
	v_rcp_iflag_f32_e32 v2, v2
	v_mul_f32_e32 v2, 0x4f7ffffe, v2
	v_cvt_u32_f32_e32 v2, v2
	v_mul_lo_u32 v6, s1, v2
	v_mul_hi_u32 v6, v2, v6
	v_add_nc_u32_e32 v2, v2, v6
	v_mul_hi_u32 v2, v7, v2
	v_mul_lo_u32 v6, v2, s18
	v_add_nc_u32_e32 v9, 1, v2
	v_sub_nc_u32_e32 v6, v7, v6
	v_subrev_nc_u32_e32 v10, s18, v6
	v_cmp_le_u32_e32 vcc_lo, s18, v6
	v_cndmask_b32_e32 v6, v6, v10, vcc_lo
	v_cndmask_b32_e32 v2, v2, v9, vcc_lo
	v_mov_b32_e32 v10, v5
	v_cmp_le_u32_e32 vcc_lo, s18, v6
	v_add_nc_u32_e32 v9, 1, v2
	v_cndmask_b32_e32 v9, v2, v9, vcc_lo
.LBB0_6:                                ;   in Loop: Header=BB0_2 Depth=1
	s_or_b32 exec_lo, exec_lo, s0
	s_load_dwordx2 s[0:1], s[6:7], 0x0
	v_mul_lo_u32 v2, v10, s18
	v_mul_lo_u32 v6, v9, s19
	v_mad_u64_u32 v[11:12], null, v9, s18, 0
	s_add_u32 s16, s16, 1
	s_addc_u32 s17, s17, 0
	s_add_u32 s6, s6, 8
	s_addc_u32 s7, s7, 0
	;; [unrolled: 2-line block ×3, first 2 shown]
	v_add3_u32 v2, v12, v6, v2
	v_sub_co_u32 v6, vcc_lo, v7, v11
	v_sub_co_ci_u32_e32 v2, vcc_lo, v8, v2, vcc_lo
	s_waitcnt lgkmcnt(0)
	v_mul_lo_u32 v7, s1, v6
	v_mul_lo_u32 v2, s0, v2
	v_mad_u64_u32 v[3:4], null, s0, v6, v[3:4]
	v_cmp_ge_u64_e64 s0, s[16:17], s[10:11]
	s_and_b32 vcc_lo, exec_lo, s0
	v_add3_u32 v4, v7, v4, v2
	s_cbranch_vccnz .LBB0_8
; %bb.7:                                ;   in Loop: Header=BB0_2 Depth=1
	v_mov_b32_e32 v7, v9
	v_mov_b32_e32 v8, v10
	s_branch .LBB0_2
.LBB0_8:
	s_lshl_b64 s[0:1], s[10:11], 3
	v_mul_hi_u32 v2, 0xaaaaaaab, v1
	s_add_u32 s0, s12, s0
	s_addc_u32 s1, s13, s1
	s_load_dwordx2 s[4:5], s[4:5], 0x20
	s_load_dwordx2 s[0:1], s[0:1], 0x0
	v_mul_hi_u32 v5, 0x7878788, v0
	v_lshrrev_b32_e32 v2, 1, v2
	v_lshl_add_u32 v6, v2, 1, v2
	v_sub_nc_u32_e32 v1, v1, v6
	s_waitcnt lgkmcnt(0)
	v_cmp_gt_u64_e32 vcc_lo, s[4:5], v[9:10]
	v_mul_lo_u32 v7, s0, v10
	v_mul_lo_u32 v8, s1, v9
	v_mad_u64_u32 v[2:3], null, s0, v9, v[3:4]
	v_mul_u32_u24_e32 v4, 34, v5
	v_mul_u32_u24_e32 v6, 0x155, v1
	v_sub_nc_u32_e32 v0, v0, v4
	v_add3_u32 v3, v8, v3, v7
	v_lshlrev_b32_e32 v23, 2, v6
	v_lshlrev_b64 v[2:3], 2, v[2:3]
	s_and_saveexec_b32 s1, vcc_lo
	s_cbranch_execz .LBB0_12
; %bb.9:
	v_mov_b32_e32 v1, 0
	v_add_co_u32 v4, s0, s2, v2
	v_add_co_ci_u32_e64 v5, s0, s3, v3, s0
	v_lshlrev_b64 v[7:8], 2, v[0:1]
	v_lshlrev_b32_e32 v1, 2, v0
	s_mov_b32 s4, exec_lo
	v_add3_u32 v1, 0, v23, v1
	v_add_co_u32 v7, s0, v4, v7
	v_add_co_ci_u32_e64 v8, s0, v5, v8, s0
	s_clause 0x9
	global_load_dword v9, v[7:8], off
	global_load_dword v10, v[7:8], off offset:136
	global_load_dword v11, v[7:8], off offset:272
	;; [unrolled: 1-line block ×9, first 2 shown]
	v_add_nc_u32_e32 v8, 0x400, v1
	s_waitcnt vmcnt(8)
	ds_write2_b32 v1, v9, v10 offset1:34
	s_waitcnt vmcnt(6)
	ds_write2_b32 v1, v11, v12 offset0:68 offset1:102
	s_waitcnt vmcnt(4)
	ds_write2_b32 v1, v13, v14 offset0:136 offset1:170
	;; [unrolled: 2-line block ×4, first 2 shown]
	v_cmpx_eq_u32_e32 33, v0
	s_cbranch_execz .LBB0_11
; %bb.10:
	global_load_dword v4, v[4:5], off offset:1360
	v_mov_b32_e32 v0, 33
	s_waitcnt vmcnt(0)
	ds_write_b32 v1, v4 offset:1228
.LBB0_11:
	s_or_b32 exec_lo, exec_lo, s4
.LBB0_12:
	s_or_b32 exec_lo, exec_lo, s1
	v_lshl_add_u32 v20, v6, 2, 0
	v_lshlrev_b32_e32 v7, 2, v0
	s_waitcnt lgkmcnt(0)
	s_barrier
	buffer_gl0_inv
	s_mov_b32 s1, exec_lo
	v_add_nc_u32_e32 v22, v20, v7
	v_sub_nc_u32_e32 v6, v20, v7
                                        ; implicit-def: $vgpr4_vgpr5
	ds_read_u16 v10, v22
	ds_read_u16 v11, v6 offset:1360
	s_waitcnt lgkmcnt(0)
	v_add_f16_e32 v9, v11, v10
	v_sub_f16_e32 v8, v10, v11
	v_cmpx_ne_u32_e32 0, v0
	s_xor_b32 s1, exec_lo, s1
	s_cbranch_execz .LBB0_14
; %bb.13:
	v_mov_b32_e32 v1, 0
	v_add_f16_e32 v9, v11, v10
	v_sub_f16_e32 v10, v10, v11
	v_lshlrev_b64 v[4:5], 2, v[0:1]
	v_add_co_u32 v4, s0, s8, v4
	v_add_co_ci_u32_e64 v5, s0, s9, v5, s0
	global_load_dword v4, v[4:5], off offset:1292
	ds_read_u16 v5, v6 offset:1362
	ds_read_u16 v8, v22 offset:2
	s_waitcnt lgkmcnt(0)
	v_add_f16_e32 v11, v5, v8
	v_sub_f16_e32 v5, v8, v5
	s_waitcnt vmcnt(0)
	v_lshrrev_b32_e32 v12, 16, v4
	v_fma_f16 v13, -v10, v12, v9
	v_fma_f16 v14, v11, v12, -v5
	v_fma_f16 v8, v11, v12, v5
	v_fma_f16 v9, v10, v12, v9
	v_fmac_f16_e32 v13, v4, v11
	v_fmac_f16_e32 v14, v10, v4
	;; [unrolled: 1-line block ×3, first 2 shown]
	v_fma_f16 v9, -v4, v11, v9
	v_mov_b32_e32 v5, v1
	v_mov_b32_e32 v4, v0
	v_pack_b32_f16 v10, v13, v14
	ds_write_b32 v6, v10 offset:1360
.LBB0_14:
	s_andn2_saveexec_b32 s0, s1
	s_cbranch_execz .LBB0_16
; %bb.15:
	ds_read_b32 v1, v20 offset:680
	v_mov_b32_e32 v4, 0
	v_mov_b32_e32 v5, 0
	s_waitcnt lgkmcnt(0)
	v_pk_mul_f16 v1, 0xc0004000, v1
	ds_write_b32 v20, v1 offset:680
.LBB0_16:
	s_or_b32 exec_lo, exec_lo, s0
	v_lshlrev_b64 v[4:5], 2, v[4:5]
	s_add_u32 s0, s8, 0x50c
	s_addc_u32 s1, s9, 0
	v_add_co_u32 v4, s0, s0, v4
	v_add_co_ci_u32_e64 v5, s0, s1, v5, s0
	s_mov_b32 s1, exec_lo
	s_clause 0x3
	global_load_dword v1, v[4:5], off offset:136
	global_load_dword v10, v[4:5], off offset:272
	;; [unrolled: 1-line block ×4, first 2 shown]
	v_perm_b32 v5, v8, v9, 0x5040100
	ds_write_b32 v22, v5
	ds_read_b32 v5, v22 offset:136
	ds_read_b32 v8, v6 offset:1224
	s_waitcnt lgkmcnt(0)
	v_add_f16_e32 v9, v5, v8
	v_add_f16_sdwa v12, v8, v5 dst_sel:DWORD dst_unused:UNUSED_PAD src0_sel:WORD_1 src1_sel:WORD_1
	v_sub_f16_e32 v13, v5, v8
	v_sub_f16_sdwa v5, v5, v8 dst_sel:DWORD dst_unused:UNUSED_PAD src0_sel:WORD_1 src1_sel:WORD_1
	s_waitcnt vmcnt(3)
	v_lshrrev_b32_e32 v14, 16, v1
	v_fma_f16 v8, v13, v14, v9
	v_fma_f16 v15, v12, v14, v5
	v_fma_f16 v9, -v13, v14, v9
	v_fma_f16 v5, v12, v14, -v5
	v_fma_f16 v8, -v1, v12, v8
	v_fmac_f16_e32 v15, v13, v1
	v_fmac_f16_e32 v9, v1, v12
	;; [unrolled: 1-line block ×3, first 2 shown]
	v_pack_b32_f16 v1, v8, v15
	s_waitcnt vmcnt(2)
	v_lshrrev_b32_e32 v8, 16, v10
	v_pack_b32_f16 v5, v9, v5
	ds_write_b32 v22, v1 offset:136
	ds_write_b32 v6, v5 offset:1224
	ds_read_b32 v1, v22 offset:272
	ds_read_b32 v5, v6 offset:1088
	s_waitcnt lgkmcnt(0)
	v_add_f16_e32 v9, v1, v5
	v_add_f16_sdwa v12, v5, v1 dst_sel:DWORD dst_unused:UNUSED_PAD src0_sel:WORD_1 src1_sel:WORD_1
	v_sub_f16_e32 v13, v1, v5
	v_sub_f16_sdwa v1, v1, v5 dst_sel:DWORD dst_unused:UNUSED_PAD src0_sel:WORD_1 src1_sel:WORD_1
	v_fma_f16 v5, v13, v8, v9
	v_fma_f16 v14, v12, v8, v1
	v_fma_f16 v9, -v13, v8, v9
	v_fma_f16 v1, v12, v8, -v1
	s_waitcnt vmcnt(1)
	v_lshrrev_b32_e32 v8, 16, v11
	v_fma_f16 v5, -v10, v12, v5
	v_fmac_f16_e32 v14, v13, v10
	v_fmac_f16_e32 v9, v10, v12
	;; [unrolled: 1-line block ×3, first 2 shown]
	v_pack_b32_f16 v5, v5, v14
	v_pack_b32_f16 v1, v9, v1
	ds_write_b32 v22, v5 offset:272
	ds_write_b32 v6, v1 offset:1088
	ds_read_b32 v1, v22 offset:408
	ds_read_b32 v5, v6 offset:952
	s_waitcnt lgkmcnt(0)
	v_add_f16_e32 v9, v1, v5
	v_add_f16_sdwa v10, v5, v1 dst_sel:DWORD dst_unused:UNUSED_PAD src0_sel:WORD_1 src1_sel:WORD_1
	v_sub_f16_e32 v12, v1, v5
	v_sub_f16_sdwa v1, v1, v5 dst_sel:DWORD dst_unused:UNUSED_PAD src0_sel:WORD_1 src1_sel:WORD_1
	v_fma_f16 v5, v12, v8, v9
	v_fma_f16 v13, v10, v8, v1
	v_fma_f16 v9, -v12, v8, v9
	v_fma_f16 v1, v10, v8, -v1
	s_waitcnt vmcnt(0)
	v_lshrrev_b32_e32 v8, 16, v4
	v_fma_f16 v5, -v11, v10, v5
	v_fmac_f16_e32 v13, v12, v11
	v_fmac_f16_e32 v9, v11, v10
	;; [unrolled: 1-line block ×3, first 2 shown]
	v_pack_b32_f16 v5, v5, v13
	v_pack_b32_f16 v1, v9, v1
	ds_write_b32 v22, v5 offset:408
	ds_write_b32 v6, v1 offset:952
	ds_read_b32 v1, v22 offset:544
	ds_read_b32 v5, v6 offset:816
	s_waitcnt lgkmcnt(0)
	v_add_f16_e32 v9, v1, v5
	v_add_f16_sdwa v10, v5, v1 dst_sel:DWORD dst_unused:UNUSED_PAD src0_sel:WORD_1 src1_sel:WORD_1
	v_sub_f16_e32 v11, v1, v5
	v_sub_f16_sdwa v1, v1, v5 dst_sel:DWORD dst_unused:UNUSED_PAD src0_sel:WORD_1 src1_sel:WORD_1
	v_fma_f16 v5, v11, v8, v9
	v_fma_f16 v12, v10, v8, v1
	v_fma_f16 v9, -v11, v8, v9
	v_fma_f16 v8, v10, v8, -v1
	v_add3_u32 v1, 0, v7, v23
	v_fma_f16 v5, -v4, v10, v5
	v_fmac_f16_e32 v12, v11, v4
	v_fmac_f16_e32 v9, v4, v10
	;; [unrolled: 1-line block ×3, first 2 shown]
	v_add_nc_u32_e32 v21, 0x400, v1
	v_pack_b32_f16 v4, v5, v12
	v_pack_b32_f16 v5, v9, v8
	ds_write_b32 v22, v4 offset:544
	ds_write_b32 v6, v5 offset:816
	s_waitcnt lgkmcnt(0)
	s_barrier
	buffer_gl0_inv
	s_barrier
	buffer_gl0_inv
	ds_read2_b32 v[18:19], v1 offset0:20 offset1:40
	ds_read_b32 v24, v22
	ds_read2_b32 v[16:17], v1 offset0:60 offset1:80
	ds_read2_b32 v[14:15], v1 offset0:100 offset1:120
	;; [unrolled: 1-line block ×7, first 2 shown]
	s_waitcnt lgkmcnt(0)
	s_barrier
	buffer_gl0_inv
	v_cmpx_gt_u32_e32 20, v0
	s_cbranch_execz .LBB0_18
; %bb.17:
	v_pk_add_f16 v25, v24, v18
	v_pk_add_f16 v28, v18, v5 neg_lo:[0,1] neg_hi:[0,1]
	v_pk_add_f16 v35, v5, v18
	v_pk_add_f16 v26, v16, v7 neg_lo:[0,1] neg_hi:[0,1]
	v_pk_add_f16 v33, v7, v16
	v_pk_add_f16 v18, v25, v19
	;; [unrolled: 1-line block ×3, first 2 shown]
	v_pk_add_f16 v27, v19, v4 neg_lo:[0,1] neg_hi:[0,1]
	v_pk_add_f16 v34, v4, v19
	v_pk_add_f16 v19, v14, v9 neg_lo:[0,1] neg_hi:[0,1]
	v_pk_add_f16 v16, v18, v16
	;; [unrolled: 2-line block ×3, first 2 shown]
	v_mul_u32_u24_e32 v36, 0x44, v0
	v_pk_add_f16 v25, v17, v6 neg_lo:[0,1] neg_hi:[0,1]
	v_pk_add_f16 v37, v16, v17
	v_pk_add_f16 v16, v13, v10 neg_lo:[0,1] neg_hi:[0,1]
	v_pk_add_f16 v32, v6, v17
	;; [unrolled: 2-line block ×3, first 2 shown]
	v_pk_add_f16 v37, v37, v14
	v_pk_add_f16 v14, v10, v13
	v_mov_b32_e32 v49, 0x3722
	v_pk_mul_f16 v38, 0xb964, v27 op_sel_hi:[0,1]
	v_mov_b32_e32 v48, 0xb8d2
	v_pk_add_f16 v15, v37, v15
	v_pk_mul_f16 v39, 0xbb29, v26 op_sel_hi:[0,1]
	v_mul_f16_sdwa v45, v35, v49 dst_sel:DWORD dst_unused:UNUSED_PAD src0_sel:WORD_1 src1_sel:DWORD
	v_mov_b32_e32 v52, 0xbbdd
	v_mul_f16_sdwa v44, v34, v48 dst_sel:DWORD dst_unused:UNUSED_PAD src0_sel:WORD_1 src1_sel:DWORD
	v_pk_add_f16 v15, v15, v12
	v_add3_u32 v12, 0, v36, v23
	v_pk_mul_f16 v40, 0xbbf7, v25 op_sel_hi:[0,1]
	v_fmamk_f16 v55, v28, 0x3b29, v45
	v_mov_b32_e32 v53, 0xb461
	v_pk_add_f16 v13, v15, v13
	v_pk_mul_f16 v15, 0xb5c8, v28 op_sel_hi:[0,1]
	v_mul_f16_sdwa v43, v33, v52 dst_sel:DWORD dst_unused:UNUSED_PAD src0_sel:WORD_1 src1_sel:DWORD
	v_pk_mul_f16 v41, 0xbbb2, v19 op_sel_hi:[0,1]
	v_fmamk_f16 v56, v27, 0x3a62, v44
	v_pk_add_f16 v10, v13, v10
	v_pk_fma_f16 v36, 0x3b76, v35, v15 op_sel:[0,0,1] op_sel_hi:[0,1,0]
	v_pk_fma_f16 v37, 0x3b76, v35, v15 op_sel:[0,0,1] op_sel_hi:[0,1,0] neg_lo:[0,0,1] neg_hi:[0,0,1]
	v_pk_fma_f16 v13, 0x39e9, v34, v38 op_sel:[0,0,1] op_sel_hi:[0,1,0]
	v_pk_fma_f16 v15, 0x39e9, v34, v38 op_sel:[0,0,1] op_sel_hi:[0,1,0] neg_lo:[0,0,1] neg_hi:[0,0,1]
	v_pk_add_f16 v10, v10, v11
	v_pk_fma_f16 v11, 0x3722, v33, v39 op_sel:[0,0,1] op_sel_hi:[0,1,0] neg_lo:[0,0,1] neg_hi:[0,0,1]
	v_bfi_b32 v38, 0xffff, v36, v37
	v_mul_f16_sdwa v42, v32, v53 dst_sel:DWORD dst_unused:UNUSED_PAD src0_sel:WORD_1 src1_sel:DWORD
	v_pk_mul_f16 v54, 0xba62, v18 op_sel_hi:[0,1]
	v_pk_add_f16 v8, v10, v8
	v_pk_fma_f16 v10, 0x3722, v33, v39 op_sel:[0,0,1] op_sel_hi:[0,1,0]
	v_bfi_b32 v39, 0xffff, v13, v15
	v_pk_add_f16 v38, v24, v38
	v_fmamk_f16 v57, v26, 0xb1e1, v43
	v_pk_add_f16 v9, v8, v9
	v_pk_fma_f16 v8, 0x2de8, v32, v40 op_sel:[0,0,1] op_sel_hi:[0,1,0]
	v_mov_b32_e32 v47, 0x39e9
	v_pk_add_f16 v38, v39, v38
	v_mov_b32_e32 v59, 0xbb29
	v_pk_add_f16 v6, v9, v6
	v_pk_fma_f16 v9, 0x2de8, v32, v40 op_sel:[0,0,1] op_sel_hi:[0,1,0] neg_lo:[0,0,1] neg_hi:[0,0,1]
	v_add_f16_sdwa v40, v24, v55 dst_sel:DWORD dst_unused:UNUSED_PAD src0_sel:WORD_1 src1_sel:DWORD
	v_bfi_b32 v55, 0xffff, v10, v11
	v_mov_b32_e32 v50, 0x3b76
	v_pk_add_f16 v7, v6, v7
	v_pk_fma_f16 v6, 0xb461, v31, v41 op_sel:[0,0,1] op_sel_hi:[0,1,0]
	v_bfi_b32 v39, 0xffff, v8, v9
	v_add_f16_e32 v40, v56, v40
	v_pk_add_f16 v38, v55, v38
	v_pk_add_f16 v7, v7, v4
	v_pk_fma_f16 v4, 0xb461, v31, v41 op_sel:[0,0,1] op_sel_hi:[0,1,0] neg_lo:[0,0,1] neg_hi:[0,0,1]
	v_fmamk_f16 v41, v25, 0xbbb2, v42
	v_add_f16_e32 v40, v57, v40
	v_pk_add_f16 v38, v39, v38
	v_pk_add_f16 v65, v7, v5
	v_bfi_b32 v39, 0xffff, v6, v4
	v_pk_fma_f16 v5, 0xb8d2, v30, v54 op_sel:[0,0,1] op_sel_hi:[0,1,0]
	v_pk_fma_f16 v7, 0xb8d2, v30, v54 op_sel:[0,0,1] op_sel_hi:[0,1,0] neg_lo:[0,0,1] neg_hi:[0,0,1]
	v_pk_mul_f16 v55, 0xb836, v17 op_sel_hi:[0,1]
	v_add_f16_e32 v56, v41, v40
	v_pk_add_f16 v40, v39, v38
	v_pk_mul_f16 v57, 0xb1e1, v16 op_sel_hi:[0,1]
	v_bfi_b32 v41, 0xffff, v5, v7
	v_mul_f16_sdwa v54, v31, v47 dst_sel:DWORD dst_unused:UNUSED_PAD src0_sel:WORD_1 src1_sel:DWORD
	v_pk_fma_f16 v38, 0xbacd, v29, v55 op_sel:[0,0,1] op_sel_hi:[0,1,0]
	v_pk_fma_f16 v39, 0xbacd, v29, v55 op_sel:[0,0,1] op_sel_hi:[0,1,0] neg_lo:[0,0,1] neg_hi:[0,0,1]
	v_mov_b32_e32 v79, 0xba62
	v_pk_add_f16 v60, v41, v40
	v_pk_fma_f16 v40, 0xbbdd, v14, v57 op_sel:[0,0,1] op_sel_hi:[0,1,0]
	v_pk_fma_f16 v41, 0xbbdd, v14, v57 op_sel:[0,0,1] op_sel_hi:[0,1,0] neg_lo:[0,0,1] neg_hi:[0,0,1]
	v_mul_f16_sdwa v57, v28, v59 dst_sel:DWORD dst_unused:UNUSED_PAD src0_sel:WORD_1 src1_sel:DWORD
	v_fmamk_f16 v58, v19, 0xb964, v54
	v_mul_f16_sdwa v55, v30, v50 dst_sel:DWORD dst_unused:UNUSED_PAD src0_sel:WORD_1 src1_sel:DWORD
	v_bfi_b32 v61, 0xffff, v38, v39
	v_mul_f16_sdwa v63, v27, v79 dst_sel:DWORD dst_unused:UNUSED_PAD src0_sel:WORD_1 src1_sel:DWORD
	v_fmamk_f16 v64, v35, 0x3722, v57
	v_mov_b32_e32 v66, 0x31e1
	v_mov_b32_e32 v51, 0x2de8
	v_add_f16_e32 v58, v58, v56
	v_fmamk_f16 v62, v18, 0x35c8, v55
	v_pk_add_f16 v67, v61, v60
	v_add_f16_e32 v61, v24, v64
	v_fmamk_f16 v64, v34, 0xb8d2, v63
	v_mul_f16_sdwa v60, v26, v66 dst_sel:DWORD dst_unused:UNUSED_PAD src0_sel:WORD_1 src1_sel:DWORD
	v_mov_b32_e32 v86, 0x3bb2
	v_mul_f16_sdwa v56, v29, v51 dst_sel:DWORD dst_unused:UNUSED_PAD src0_sel:WORD_1 src1_sel:DWORD
	v_bfi_b32 v68, 0xffff, v40, v41
	v_add_f16_e32 v69, v62, v58
	v_add_f16_e32 v62, v64, v61
	v_fmamk_f16 v64, v33, 0xbbdd, v60
	v_mul_f16_sdwa v61, v25, v86 dst_sel:DWORD dst_unused:UNUSED_PAD src0_sel:WORD_1 src1_sel:DWORD
	v_mov_b32_e32 v87, 0x3964
	v_fmamk_f16 v70, v17, 0x3bf7, v56
	v_pk_add_f16 v71, v68, v67
	v_add_f16_e32 v64, v64, v62
	v_fmamk_f16 v67, v32, 0xb461, v61
	v_mul_f16_sdwa v62, v19, v87 dst_sel:DWORD dst_unused:UNUSED_PAD src0_sel:WORD_1 src1_sel:DWORD
	v_mov_b32_e32 v88, 0xb5c8
	v_mul_f16_sdwa v66, v35, v47 dst_sel:DWORD dst_unused:UNUSED_PAD src0_sel:WORD_1 src1_sel:DWORD
	v_add_f16_e32 v80, v70, v69
	v_add_f16_e32 v68, v67, v64
	v_fmamk_f16 v69, v31, 0x39e9, v62
	v_mul_f16_sdwa v64, v18, v88 dst_sel:DWORD dst_unused:UNUSED_PAD src0_sel:WORD_1 src1_sel:DWORD
	v_fmamk_f16 v70, v28, 0x3964, v66
	v_mul_f16_sdwa v67, v34, v51 dst_sel:DWORD dst_unused:UNUSED_PAD src0_sel:WORD_1 src1_sel:DWORD
	v_mov_b32_e32 v89, 0xbbf7
	v_add_f16_e32 v69, v69, v68
	v_fmamk_f16 v72, v30, 0x3b76, v64
	v_add_f16_sdwa v70, v24, v70 dst_sel:DWORD dst_unused:UNUSED_PAD src0_sel:WORD_1 src1_sel:DWORD
	v_fmamk_f16 v73, v27, 0x3bf7, v67
	v_mul_f16_sdwa v68, v33, v48 dst_sel:DWORD dst_unused:UNUSED_PAD src0_sel:WORD_1 src1_sel:DWORD
	v_mov_b32_e32 v46, 0xbacd
	ds_write2_b32 v12, v65, v71 offset1:1
	v_add_f16_e32 v72, v72, v69
	v_add_f16_e32 v70, v73, v70
	v_fmamk_f16 v71, v26, 0x3a62, v68
	v_mul_f16_sdwa v69, v32, v52 dst_sel:DWORD dst_unused:UNUSED_PAD src0_sel:WORD_1 src1_sel:DWORD
	v_mul_f16_sdwa v65, v17, v89 dst_sel:DWORD dst_unused:UNUSED_PAD src0_sel:WORD_1 src1_sel:DWORD
	v_mov_b32_e32 v91, 0xb964
	v_mul_f16_sdwa v78, v26, v79 dst_sel:DWORD dst_unused:UNUSED_PAD src0_sel:WORD_1 src1_sel:DWORD
	v_add_f16_e32 v73, v71, v70
	v_fmamk_f16 v74, v25, 0x31e1, v69
	v_mul_f16_sdwa v71, v31, v46 dst_sel:DWORD dst_unused:UNUSED_PAD src0_sel:WORD_1 src1_sel:DWORD
	v_fmamk_f16 v76, v29, 0x2de8, v65
	v_mul_f16_sdwa v75, v28, v91 dst_sel:DWORD dst_unused:UNUSED_PAD src0_sel:WORD_1 src1_sel:DWORD
	v_mov_b32_e32 v92, 0xb1e1
	v_add_f16_e32 v73, v74, v73
	v_fmamk_f16 v74, v19, 0xb836, v71
	v_add_f16_e32 v82, v76, v72
	v_fmamk_f16 v72, v35, 0x39e9, v75
	v_mul_f16_sdwa v76, v27, v89 dst_sel:DWORD dst_unused:UNUSED_PAD src0_sel:WORD_1 src1_sel:DWORD
	v_mul_f16_sdwa v58, v14, v46 dst_sel:DWORD dst_unused:UNUSED_PAD src0_sel:WORD_1 src1_sel:DWORD
	v_add_f16_e32 v74, v74, v73
	v_mov_b32_e32 v90, 0xb836
	v_add_f16_e32 v73, v24, v72
	v_fmamk_f16 v84, v34, 0x2de8, v76
	v_mul_f16_sdwa v77, v30, v53 dst_sel:DWORD dst_unused:UNUSED_PAD src0_sel:WORD_1 src1_sel:DWORD
	v_fmamk_f16 v93, v33, 0xb8d2, v78
	v_fmamk_f16 v81, v16, 0x3836, v58
	v_mul_f16_sdwa v70, v16, v90 dst_sel:DWORD dst_unused:UNUSED_PAD src0_sel:WORD_1 src1_sel:DWORD
	v_add_f16_e32 v84, v84, v73
	v_mul_f16_sdwa v73, v25, v92 dst_sel:DWORD dst_unused:UNUSED_PAD src0_sel:WORD_1 src1_sel:DWORD
	v_fmamk_f16 v85, v18, 0xbbb2, v77
	v_mul_f16_sdwa v72, v29, v49 dst_sel:DWORD dst_unused:UNUSED_PAD src0_sel:WORD_1 src1_sel:DWORD
	v_mov_b32_e32 v94, 0x3836
	v_add_f16_e32 v84, v93, v84
	v_fmamk_f16 v93, v32, 0xbbdd, v73
	v_fmamk_f16 v83, v14, 0xbacd, v70
	v_add_f16_e32 v85, v85, v74
	v_fmamk_f16 v95, v17, 0xbb29, v72
	v_mul_f16_sdwa v74, v19, v94 dst_sel:DWORD dst_unused:UNUSED_PAD src0_sel:WORD_1 src1_sel:DWORD
	v_add_f16_e32 v96, v81, v80
	v_add_f16_e32 v81, v93, v84
	v_mul_f16_sdwa v93, v35, v46 dst_sel:DWORD dst_unused:UNUSED_PAD src0_sel:WORD_1 src1_sel:DWORD
	v_add_f16_e32 v97, v83, v82
	v_add_f16_e32 v85, v95, v85
	v_fmamk_f16 v82, v31, 0xbacd, v74
	v_mul_f16_sdwa v80, v18, v86 dst_sel:DWORD dst_unused:UNUSED_PAD src0_sel:WORD_1 src1_sel:DWORD
	v_mov_b32_e32 v95, 0x3b29
	v_fmamk_f16 v84, v28, 0x3836, v93
	v_mul_f16_sdwa v98, v34, v49 dst_sel:DWORD dst_unused:UNUSED_PAD src0_sel:WORD_1 src1_sel:DWORD
	v_mul_f16_sdwa v83, v14, v50 dst_sel:DWORD dst_unused:UNUSED_PAD src0_sel:WORD_1 src1_sel:DWORD
	v_add_f16_e32 v82, v82, v81
	v_fmamk_f16 v99, v30, 0xb461, v80
	v_mul_f16_sdwa v81, v17, v95 dst_sel:DWORD dst_unused:UNUSED_PAD src0_sel:WORD_1 src1_sel:DWORD
	v_mov_b32_e32 v100, 0x35c8
	v_add_f16_sdwa v84, v24, v84 dst_sel:DWORD dst_unused:UNUSED_PAD src0_sel:WORD_1 src1_sel:DWORD
	v_fmamk_f16 v101, v27, 0xbb29, v98
	v_mul_f16_sdwa v102, v33, v51 dst_sel:DWORD dst_unused:UNUSED_PAD src0_sel:WORD_1 src1_sel:DWORD
	v_add_f16_e32 v99, v99, v82
	v_fmamk_f16 v103, v29, 0x3722, v81
	v_mul_f16_sdwa v82, v16, v100 dst_sel:DWORD dst_unused:UNUSED_PAD src0_sel:WORD_1 src1_sel:DWORD
	v_add_f16_e32 v84, v101, v84
	v_fmamk_f16 v101, v26, 0x3bf7, v102
	v_mul_f16_sdwa v104, v32, v48 dst_sel:DWORD dst_unused:UNUSED_PAD src0_sel:WORD_1 src1_sel:DWORD
	v_fmamk_f16 v105, v16, 0xb5c8, v83
	v_add_f16_e32 v99, v103, v99
	v_fmamk_f16 v103, v14, 0x3b76, v82
	v_add_f16_e32 v84, v101, v84
	v_fmamk_f16 v101, v25, 0xba62, v104
	v_mul_f16_sdwa v106, v31, v50 dst_sel:DWORD dst_unused:UNUSED_PAD src0_sel:WORD_1 src1_sel:DWORD
	v_add_f16_e32 v85, v105, v85
	v_mul_f16_sdwa v105, v28, v90 dst_sel:DWORD dst_unused:UNUSED_PAD src0_sel:WORD_1 src1_sel:DWORD
	v_add_f16_e32 v99, v103, v99
	v_add_f16_e32 v84, v101, v84
	v_fmamk_f16 v101, v19, 0x35c8, v106
	v_pack_b32_f16 v96, v97, v96
	v_fmamk_f16 v97, v35, 0xbacd, v105
	v_mul_f16_sdwa v103, v27, v95 dst_sel:DWORD dst_unused:UNUSED_PAD src0_sel:WORD_1 src1_sel:DWORD
	v_mul_f16_sdwa v107, v26, v89 dst_sel:DWORD dst_unused:UNUSED_PAD src0_sel:WORD_1 src1_sel:DWORD
	v_add_f16_e32 v84, v101, v84
	v_mov_b32_e32 v108, 0x3a62
	v_add_f16_e32 v97, v24, v97
	v_fmamk_f16 v101, v34, 0x3722, v103
	v_pack_b32_f16 v85, v99, v85
	v_mul_f16_sdwa v99, v30, v52 dst_sel:DWORD dst_unused:UNUSED_PAD src0_sel:WORD_1 src1_sel:DWORD
	v_mul_f16_sdwa v111, v25, v108 dst_sel:DWORD dst_unused:UNUSED_PAD src0_sel:WORD_1 src1_sel:DWORD
	;; [unrolled: 1-line block ×3, first 2 shown]
	v_add_f16_e32 v97, v101, v97
	v_fmamk_f16 v101, v33, 0x2de8, v107
	v_fmamk_f16 v109, v18, 0x31e1, v99
	ds_write2_b32 v12, v85, v96 offset0:2 offset1:3
	v_fmamk_f16 v96, v32, 0xb8d2, v111
	v_mul_f16_sdwa v112, v18, v92 dst_sel:DWORD dst_unused:UNUSED_PAD src0_sel:WORD_1 src1_sel:DWORD
	v_add_f16_e32 v85, v101, v97
	v_mul_f16_sdwa v97, v19, v88 dst_sel:DWORD dst_unused:UNUSED_PAD src0_sel:WORD_1 src1_sel:DWORD
	v_add_f16_e32 v84, v109, v84
	v_fmamk_f16 v109, v17, 0xb964, v110
	v_mul_f16_sdwa v116, v17, v87 dst_sel:DWORD dst_unused:UNUSED_PAD src0_sel:WORD_1 src1_sel:DWORD
	v_add_f16_e32 v85, v96, v85
	v_fmamk_f16 v96, v31, 0x3b76, v97
	v_mul_f16_sdwa v101, v14, v53 dst_sel:DWORD dst_unused:UNUSED_PAD src0_sel:WORD_1 src1_sel:DWORD
	v_add_f16_e32 v84, v109, v84
	v_mul_f16_sdwa v109, v35, v48 dst_sel:DWORD dst_unused:UNUSED_PAD src0_sel:WORD_1 src1_sel:DWORD
	v_mul_f16_sdwa v115, v34, v53 dst_sel:DWORD dst_unused:UNUSED_PAD src0_sel:WORD_1 src1_sel:DWORD
	v_add_f16_e32 v85, v96, v85
	v_fmamk_f16 v96, v30, 0xbbdd, v112
	v_fmamk_f16 v113, v16, 0x3bb2, v101
	;; [unrolled: 1-line block ×4, first 2 shown]
	v_mul_f16_sdwa v118, v33, v50 dst_sel:DWORD dst_unused:UNUSED_PAD src0_sel:WORD_1 src1_sel:DWORD
	v_add_f16_e32 v85, v96, v85
	v_fmamk_f16 v96, v29, 0x39e9, v116
	v_add_f16_sdwa v114, v24, v114 dst_sel:DWORD dst_unused:UNUSED_PAD src0_sel:WORD_1 src1_sel:DWORD
	v_add_f16_e32 v84, v113, v84
	v_mul_f16_sdwa v122, v27, v86 dst_sel:DWORD dst_unused:UNUSED_PAD src0_sel:WORD_1 src1_sel:DWORD
	v_mov_b32_e32 v119, 0xbbb2
	v_add_f16_e32 v85, v96, v85
	v_mul_f16_sdwa v96, v28, v79 dst_sel:DWORD dst_unused:UNUSED_PAD src0_sel:WORD_1 src1_sel:DWORD
	v_add_f16_e32 v113, v117, v114
	v_fmamk_f16 v114, v26, 0x35c8, v118
	v_mul_f16_sdwa v117, v32, v46 dst_sel:DWORD dst_unused:UNUSED_PAD src0_sel:WORD_1 src1_sel:DWORD
	v_mul_f16_sdwa v120, v31, v51 dst_sel:DWORD dst_unused:UNUSED_PAD src0_sel:WORD_1 src1_sel:DWORD
	v_fmamk_f16 v121, v35, 0xb8d2, v96
	v_fmamk_f16 v124, v34, 0xb461, v122
	v_add_f16_e32 v113, v114, v113
	v_fmamk_f16 v114, v25, 0x3836, v117
	v_mul_f16_sdwa v125, v26, v88 dst_sel:DWORD dst_unused:UNUSED_PAD src0_sel:WORD_1 src1_sel:DWORD
	v_add_f16_e32 v121, v24, v121
	v_mul_f16_sdwa v123, v16, v119 dst_sel:DWORD dst_unused:UNUSED_PAD src0_sel:WORD_1 src1_sel:DWORD
	v_mul_f16_sdwa v127, v25, v90 dst_sel:DWORD dst_unused:UNUSED_PAD src0_sel:WORD_1 src1_sel:DWORD
	v_add_f16_e32 v113, v114, v113
	v_fmamk_f16 v114, v19, 0xbbf7, v120
	v_add_f16_e32 v121, v124, v121
	v_fmamk_f16 v124, v33, 0x3b76, v125
	v_mov_b32_e32 v128, 0x3bf7
	v_fmamk_f16 v126, v14, 0xb461, v123
	v_add_f16_e32 v113, v114, v113
	v_mul_f16_sdwa v114, v30, v47 dst_sel:DWORD dst_unused:UNUSED_PAD src0_sel:WORD_1 src1_sel:DWORD
	v_add_f16_e32 v121, v124, v121
	v_fmamk_f16 v124, v32, 0xbacd, v127
	v_mul_f16_sdwa v131, v19, v128 dst_sel:DWORD dst_unused:UNUSED_PAD src0_sel:WORD_1 src1_sel:DWORD
	v_mul_f16_sdwa v132, v35, v53 dst_sel:DWORD dst_unused:UNUSED_PAD src0_sel:WORD_1 src1_sel:DWORD
	v_fmamk_f16 v129, v18, 0x3964, v114
	v_mul_f16_sdwa v130, v29, v52 dst_sel:DWORD dst_unused:UNUSED_PAD src0_sel:WORD_1 src1_sel:DWORD
	v_add_f16_e32 v85, v126, v85
	v_add_f16_e32 v121, v124, v121
	v_fmamk_f16 v124, v31, 0x2de8, v131
	v_fmamk_f16 v126, v28, 0x3bb2, v132
	v_mul_f16_sdwa v133, v34, v46 dst_sel:DWORD dst_unused:UNUSED_PAD src0_sel:WORD_1 src1_sel:DWORD
	v_add_f16_e32 v113, v129, v113
	v_fmamk_f16 v129, v17, 0x31e1, v130
	v_mul_f16_sdwa v91, v18, v91 dst_sel:DWORD dst_unused:UNUSED_PAD src0_sel:WORD_1 src1_sel:DWORD
	v_add_f16_e32 v121, v124, v121
	v_add_f16_sdwa v124, v24, v126 dst_sel:DWORD dst_unused:UNUSED_PAD src0_sel:WORD_1 src1_sel:DWORD
	v_fmamk_f16 v126, v27, 0xb836, v133
	v_mul_f16_sdwa v134, v33, v47 dst_sel:DWORD dst_unused:UNUSED_PAD src0_sel:WORD_1 src1_sel:DWORD
	v_add_f16_e32 v113, v129, v113
	v_mul_f16_sdwa v129, v14, v49 dst_sel:DWORD dst_unused:UNUSED_PAD src0_sel:WORD_1 src1_sel:DWORD
	v_fmamk_f16 v135, v30, 0x39e9, v91
	v_mul_f16_sdwa v136, v17, v92 dst_sel:DWORD dst_unused:UNUSED_PAD src0_sel:WORD_1 src1_sel:DWORD
	v_add_f16_e32 v124, v126, v124
	v_fmamk_f16 v126, v26, 0xb964, v134
	v_mul_f16_sdwa v138, v32, v49 dst_sel:DWORD dst_unused:UNUSED_PAD src0_sel:WORD_1 src1_sel:DWORD
	v_mul_f16_sdwa v119, v28, v119 dst_sel:DWORD dst_unused:UNUSED_PAD src0_sel:WORD_1 src1_sel:DWORD
	v_fmamk_f16 v137, v16, 0xbb29, v129
	v_add_f16_e32 v121, v135, v121
	v_fmamk_f16 v135, v29, 0xbbdd, v136
	v_mul_f16_sdwa v95, v16, v95 dst_sel:DWORD dst_unused:UNUSED_PAD src0_sel:WORD_1 src1_sel:DWORD
	v_add_f16_e32 v124, v126, v124
	v_fmamk_f16 v126, v25, 0x3b29, v138
	v_mul_f16_sdwa v139, v31, v52 dst_sel:DWORD dst_unused:UNUSED_PAD src0_sel:WORD_1 src1_sel:DWORD
	v_fmamk_f16 v140, v35, 0xb461, v119
	v_mul_f16_sdwa v94, v27, v94 dst_sel:DWORD dst_unused:UNUSED_PAD src0_sel:WORD_1 src1_sel:DWORD
	v_add_f16_e32 v113, v137, v113
	v_add_f16_e32 v121, v135, v121
	v_add_f16_e32 v124, v126, v124
	v_fmamk_f16 v126, v19, 0x31e1, v139
	v_mul_f16_sdwa v135, v30, v51 dst_sel:DWORD dst_unused:UNUSED_PAD src0_sel:WORD_1 src1_sel:DWORD
	v_fmamk_f16 v137, v14, 0x3722, v95
	v_add_f16_e32 v140, v24, v140
	v_fmamk_f16 v142, v34, 0xbacd, v94
	v_mul_f16_sdwa v143, v26, v87 dst_sel:DWORD dst_unused:UNUSED_PAD src0_sel:WORD_1 src1_sel:DWORD
	v_add_f16_e32 v124, v126, v124
	v_fmamk_f16 v126, v18, 0xbbf7, v135
	v_mul_f16_sdwa v141, v29, v50 dst_sel:DWORD dst_unused:UNUSED_PAD src0_sel:WORD_1 src1_sel:DWORD
	v_add_f16_e32 v121, v137, v121
	v_add_f16_e32 v137, v142, v140
	v_fmamk_f16 v140, v33, 0x39e9, v143
	v_mul_f16_sdwa v142, v25, v59 dst_sel:DWORD dst_unused:UNUSED_PAD src0_sel:WORD_1 src1_sel:DWORD
	v_mul_f16_sdwa v51, v35, v51 dst_sel:DWORD dst_unused:UNUSED_PAD src0_sel:WORD_1 src1_sel:DWORD
	v_add_f16_e32 v124, v126, v124
	v_fmamk_f16 v126, v17, 0x35c8, v141
	v_add_f16_e32 v137, v140, v137
	v_fmamk_f16 v140, v32, 0x3722, v142
	v_mul_f16_sdwa v144, v19, v92 dst_sel:DWORD dst_unused:UNUSED_PAD src0_sel:WORD_1 src1_sel:DWORD
	v_fmamk_f16 v146, v28, 0x3bf7, v51
	v_mul_f16_sdwa v52, v34, v52 dst_sel:DWORD dst_unused:UNUSED_PAD src0_sel:WORD_1 src1_sel:DWORD
	v_add_f16_e32 v124, v126, v124
	v_mul_f16_sdwa v126, v14, v48 dst_sel:DWORD dst_unused:UNUSED_PAD src0_sel:WORD_1 src1_sel:DWORD
	v_add_f16_e32 v137, v140, v137
	v_fmamk_f16 v140, v31, 0xbbdd, v144
	v_mul_f16_sdwa v128, v18, v128 dst_sel:DWORD dst_unused:UNUSED_PAD src0_sel:WORD_1 src1_sel:DWORD
	v_add_f16_sdwa v146, v24, v146 dst_sel:DWORD dst_unused:UNUSED_PAD src0_sel:WORD_1 src1_sel:DWORD
	v_fmamk_f16 v147, v27, 0x31e1, v52
	v_mul_f16_sdwa v53, v33, v53 dst_sel:DWORD dst_unused:UNUSED_PAD src0_sel:WORD_1 src1_sel:DWORD
	v_fmamk_f16 v145, v16, 0x3a62, v126
	v_add_f16_e32 v137, v140, v137
	v_fmamk_f16 v140, v30, 0x2de8, v128
	v_mul_f16_sdwa v88, v17, v88 dst_sel:DWORD dst_unused:UNUSED_PAD src0_sel:WORD_1 src1_sel:DWORD
	v_add_f16_e32 v146, v147, v146
	v_fmamk_f16 v147, v26, 0xbbb2, v53
	v_mul_f16_sdwa v50, v32, v50 dst_sel:DWORD dst_unused:UNUSED_PAD src0_sel:WORD_1 src1_sel:DWORD
	v_add_f16_e32 v137, v140, v137
	v_fmamk_f16 v140, v29, 0x3b76, v88
	v_add_f16_e32 v124, v145, v124
	v_add_f16_e32 v145, v147, v146
	v_fmamk_f16 v146, v25, 0xb5c8, v50
	v_mul_f16_sdwa v49, v31, v49 dst_sel:DWORD dst_unused:UNUSED_PAD src0_sel:WORD_1 src1_sel:DWORD
	v_mul_f16_sdwa v89, v28, v89 dst_sel:DWORD dst_unused:UNUSED_PAD src0_sel:WORD_1 src1_sel:DWORD
	v_add_f16_e32 v137, v140, v137
	v_mul_f16_sdwa v79, v16, v79 dst_sel:DWORD dst_unused:UNUSED_PAD src0_sel:WORD_1 src1_sel:DWORD
	v_add_f16_e32 v140, v146, v145
	v_fmamk_f16 v145, v19, 0x3b29, v49
	v_mul_f16_sdwa v46, v30, v46 dst_sel:DWORD dst_unused:UNUSED_PAD src0_sel:WORD_1 src1_sel:DWORD
	v_fmamk_f16 v147, v35, 0x2de8, v89
	v_mul_f16_sdwa v92, v27, v92 dst_sel:DWORD dst_unused:UNUSED_PAD src0_sel:WORD_1 src1_sel:DWORD
	v_fmac_f16_e32 v93, 0xb836, v28
	v_fmamk_f16 v146, v14, 0xb8d2, v79
	v_add_f16_e32 v140, v145, v140
	v_fmamk_f16 v145, v18, 0x3836, v46
	v_mul_f16_sdwa v48, v29, v48 dst_sel:DWORD dst_unused:UNUSED_PAD src0_sel:WORD_1 src1_sel:DWORD
	v_add_f16_e32 v147, v24, v147
	v_fmamk_f16 v148, v34, 0xbbdd, v92
	v_mul_f16_sdwa v86, v26, v86 dst_sel:DWORD dst_unused:UNUSED_PAD src0_sel:WORD_1 src1_sel:DWORD
	v_add_f16_sdwa v93, v24, v93 dst_sel:DWORD dst_unused:UNUSED_PAD src0_sel:WORD_1 src1_sel:DWORD
	v_fmac_f16_e32 v98, 0x3b29, v27
	v_add_f16_e32 v140, v145, v140
	v_fmamk_f16 v145, v17, 0xba62, v48
	v_add_f16_e32 v137, v146, v137
	v_add_f16_e32 v146, v148, v147
	v_fmamk_f16 v147, v33, 0xb461, v86
	v_mul_f16_sdwa v100, v25, v100 dst_sel:DWORD dst_unused:UNUSED_PAD src0_sel:WORD_1 src1_sel:DWORD
	v_add_f16_e32 v93, v98, v93
	v_fmac_f16_e32 v102, 0xbbf7, v26
	v_add_f16_e32 v140, v145, v140
	v_add_f16_e32 v145, v147, v146
	v_fmamk_f16 v146, v32, 0x3b76, v100
	v_mul_f16_sdwa v59, v19, v59 dst_sel:DWORD dst_unused:UNUSED_PAD src0_sel:WORD_1 src1_sel:DWORD
	v_add_f16_e32 v93, v102, v93
	v_fmac_f16_e32 v104, 0x3a62, v25
	v_fma_f16 v105, v35, 0xbacd, -v105
	v_add_f16_e32 v145, v146, v145
	v_fmamk_f16 v146, v31, 0x3722, v59
	v_mul_f16_sdwa v90, v18, v90 dst_sel:DWORD dst_unused:UNUSED_PAD src0_sel:WORD_1 src1_sel:DWORD
	v_add_f16_e32 v93, v104, v93
	v_fmac_f16_e32 v106, 0xb5c8, v19
	v_fmac_f16_e32 v51, 0xbbf7, v28
	v_add_f16_e32 v98, v146, v145
	v_add_f16_e32 v105, v24, v105
	v_fma_f16 v103, v34, 0x3722, -v103
	v_fmamk_f16 v145, v30, 0xbacd, v90
	v_mul_f16_sdwa v102, v17, v108 dst_sel:DWORD dst_unused:UNUSED_PAD src0_sel:WORD_1 src1_sel:DWORD
	v_add_f16_e32 v93, v106, v93
	v_fmac_f16_e32 v99, 0xb1e1, v18
	v_add_f16_sdwa v51, v24, v51 dst_sel:DWORD dst_unused:UNUSED_PAD src0_sel:WORD_1 src1_sel:DWORD
	v_fmac_f16_e32 v52, 0xb1e1, v27
	v_fma_f16 v89, v35, 0x2de8, -v89
	v_add_f16_e32 v103, v103, v105
	v_fma_f16 v105, v33, 0x2de8, -v107
	v_add_f16_e32 v98, v145, v98
	v_fmamk_f16 v104, v29, 0xb8d2, v102
	v_add_f16_e32 v93, v99, v93
	v_fmac_f16_e32 v109, 0xba62, v28
	v_fmac_f16_e32 v110, 0x3964, v17
	v_add_f16_e32 v51, v52, v51
	v_fmac_f16_e32 v53, 0x3bb2, v26
	v_add_f16_e32 v52, v24, v89
	v_fma_f16 v89, v34, 0xbbdd, -v92
	v_add_f16_e32 v103, v105, v103
	v_fma_f16 v105, v32, 0xb8d2, -v111
	v_add_f16_e32 v98, v104, v98
	v_mul_f16_sdwa v87, v16, v87 dst_sel:DWORD dst_unused:UNUSED_PAD src0_sel:WORD_1 src1_sel:DWORD
	v_add_f16_sdwa v104, v24, v109 dst_sel:DWORD dst_unused:UNUSED_PAD src0_sel:WORD_1 src1_sel:DWORD
	v_fmac_f16_e32 v115, 0x3bb2, v27
	v_add_f16_e32 v93, v110, v93
	v_fmac_f16_e32 v101, 0xbbb2, v16
	v_fma_f16 v96, v35, 0xb8d2, -v96
	v_add_f16_e32 v51, v53, v51
	v_fmac_f16_e32 v50, 0x35c8, v25
	v_add_f16_e32 v52, v89, v52
	v_fma_f16 v53, v33, 0xb461, -v86
	v_add_f16_e32 v103, v105, v103
	v_fma_f16 v97, v31, 0x3b76, -v97
	v_fmamk_f16 v99, v14, 0x39e9, v87
	v_add_f16_e32 v104, v115, v104
	v_fmac_f16_e32 v118, 0xb5c8, v26
	v_add_f16_e32 v93, v101, v93
	v_add_f16_e32 v96, v24, v96
	v_fma_f16 v101, v34, 0xb461, -v122
	v_fmac_f16_e32 v132, 0xbbb2, v28
	v_add_f16_e32 v50, v50, v51
	v_fmac_f16_e32 v49, 0xbb29, v19
	v_add_f16_e32 v51, v53, v52
	v_fma_f16 v52, v32, 0x3b76, -v100
	v_add_f16_e32 v97, v97, v103
	v_fma_f16 v103, v30, 0xbbdd, -v112
	v_add_f16_e32 v98, v99, v98
	v_add_f16_e32 v99, v118, v104
	;; [unrolled: 1-line block ×3, first 2 shown]
	v_fma_f16 v101, v33, 0x3b76, -v125
	v_add_f16_sdwa v104, v24, v132 dst_sel:DWORD dst_unused:UNUSED_PAD src0_sel:WORD_1 src1_sel:DWORD
	v_fmac_f16_e32 v133, 0x3836, v27
	v_add_f16_e32 v49, v49, v50
	v_fmac_f16_e32 v46, 0xb836, v18
	v_add_f16_e32 v50, v52, v51
	v_fma_f16 v51, v31, 0x3722, -v59
	v_fmac_f16_e32 v45, 0xbb29, v28
	v_mul_f16_sdwa v47, v14, v47 dst_sel:DWORD dst_unused:UNUSED_PAD src0_sel:WORD_1 src1_sel:DWORD
	v_add_f16_e32 v97, v103, v97
	v_fma_f16 v103, v29, 0x39e9, -v116
	v_add_f16_e32 v96, v101, v96
	v_fma_f16 v101, v32, 0xbacd, -v127
	v_add_f16_e32 v104, v133, v104
	v_fmac_f16_e32 v134, 0x3964, v26
	v_add_f16_e32 v46, v46, v49
	v_fmac_f16_e32 v48, 0x3a62, v17
	v_add_f16_e32 v49, v51, v50
	v_fma_f16 v50, v30, 0xbacd, -v90
	v_add_f16_sdwa v45, v24, v45 dst_sel:DWORD dst_unused:UNUSED_PAD src0_sel:WORD_1 src1_sel:DWORD
	v_fmac_f16_e32 v44, 0xba62, v27
	v_fmamk_f16 v147, v16, 0xb964, v47
	v_add_f16_e32 v97, v103, v97
	v_fma_f16 v103, v14, 0xb461, -v123
	v_add_f16_e32 v96, v101, v96
	v_fma_f16 v101, v31, 0x2de8, -v131
	v_add_f16_e32 v104, v134, v104
	v_fmac_f16_e32 v138, 0xbb29, v25
	v_add_f16_e32 v46, v48, v46
	v_fmac_f16_e32 v47, 0x3964, v16
	v_add_f16_e32 v48, v50, v49
	v_fma_f16 v49, v29, 0xb8d2, -v102
	v_add_f16_e32 v44, v44, v45
	v_fmac_f16_e32 v43, 0x31e1, v26
	v_fma_f16 v50, v35, 0x3722, -v57
	v_add_f16_e32 v97, v103, v97
	v_add_f16_e32 v96, v101, v96
	v_fma_f16 v91, v30, 0x39e9, -v91
	v_add_f16_e32 v101, v138, v104
	v_fmac_f16_e32 v139, 0xb1e1, v19
	v_fma_f16 v103, v35, 0xb461, -v119
	v_add_f16_e32 v46, v47, v46
	v_add_f16_e32 v47, v49, v48
	;; [unrolled: 1-line block ×3, first 2 shown]
	v_fmac_f16_e32 v42, 0x3bb2, v25
	v_add_f16_e32 v44, v24, v50
	v_fma_f16 v48, v34, 0xb8d2, -v63
	v_fmac_f16_e32 v66, 0xb964, v28
	v_add_f16_e32 v91, v91, v96
	v_fma_f16 v96, v29, 0xbbdd, -v136
	v_add_f16_e32 v101, v139, v101
	v_fmac_f16_e32 v135, 0x3bf7, v18
	v_add_f16_e32 v103, v24, v103
	v_fma_f16 v94, v34, 0xbacd, -v94
	v_add_f16_e32 v42, v42, v43
	v_add_f16_e32 v43, v48, v44
	v_fma_f16 v44, v33, 0xbbdd, -v60
	v_add_f16_sdwa v48, v24, v66 dst_sel:DWORD dst_unused:UNUSED_PAD src0_sel:WORD_1 src1_sel:DWORD
	v_fmac_f16_e32 v67, 0xbbf7, v27
	v_add_f16_e32 v91, v96, v91
	v_fma_f16 v95, v14, 0x3722, -v95
	v_add_f16_e32 v96, v135, v101
	v_fmac_f16_e32 v141, 0xb5c8, v17
	v_add_f16_e32 v94, v94, v103
	v_fma_f16 v101, v33, 0x39e9, -v143
	v_add_f16_e32 v43, v44, v43
	v_fma_f16 v44, v32, 0xb461, -v61
	v_add_f16_e32 v48, v67, v48
	v_fmac_f16_e32 v68, 0xba62, v26
	v_add_f16_e32 v91, v95, v91
	v_add_f16_e32 v95, v141, v96
	;; [unrolled: 1-line block ×3, first 2 shown]
	v_fma_f16 v96, v32, 0x3722, -v142
	v_fma_f16 v49, v14, 0x39e9, -v87
	v_add_f16_e32 v43, v44, v43
	v_fma_f16 v44, v31, 0x39e9, -v62
	v_add_f16_e32 v48, v68, v48
	v_fmac_f16_e32 v69, 0xb1e1, v25
	v_add_f16_e32 v94, v96, v94
	v_fma_f16 v96, v31, 0xbbdd, -v144
	v_add_f16_e32 v47, v49, v47
	v_add_f16_e32 v43, v44, v43
	v_fma_f16 v44, v30, 0x3b76, -v64
	v_add_f16_e32 v48, v69, v48
	v_fmac_f16_e32 v71, 0x3836, v19
	v_fma_f16 v49, v35, 0x39e9, -v75
	v_add_f16_e32 v92, v96, v94
	v_fma_f16 v94, v30, 0x2de8, -v128
	v_add_f16_e32 v43, v44, v43
	;; [unrolled: 2-line block ×3, first 2 shown]
	v_fmac_f16_e32 v77, 0x3bb2, v18
	v_add_f16_e32 v49, v24, v49
	v_fma_f16 v50, v34, 0x2de8, -v76
	v_add_f16_e32 v86, v94, v92
	v_fma_f16 v88, v29, 0x3b76, -v88
	;; [unrolled: 2-line block ×3, first 2 shown]
	v_add_f16_e32 v48, v77, v48
	v_fmac_f16_e32 v72, 0x3b29, v17
	v_add_f16_e32 v49, v50, v49
	v_fma_f16 v50, v33, 0xb8d2, -v78
	v_pk_mul_f16 v35, 0xbbdd, v35 op_sel_hi:[0,1]
	v_add_f16_e32 v86, v88, v86
	v_fma_f16 v52, v14, 0xb8d2, -v79
	v_fmac_f16_e32 v54, 0x3964, v19
	v_add_f16_e32 v43, v44, v43
	v_add_f16_e32 v44, v72, v48
	;; [unrolled: 1-line block ×3, first 2 shown]
	v_pk_fma_f16 v50, 0xb1e1, v28, v35 op_sel:[0,0,1] op_sel_hi:[0,1,0]
	v_alignbit_b32 v51, s0, v24, 16
	v_pk_mul_f16 v34, 0x3b76, v34 op_sel_hi:[0,1]
	v_add_f16_e32 v45, v52, v86
	v_add_f16_e32 v42, v54, v42
	v_fmac_f16_e32 v55, 0xb5c8, v18
	v_pk_add_f16 v51, v51, v50
	v_pk_fma_f16 v52, 0x35c8, v27, v34 op_sel:[0,0,1] op_sel_hi:[0,1,0]
	v_pk_mul_f16 v33, 0xbacd, v33 op_sel_hi:[0,1]
	v_pk_fma_f16 v28, 0xb1e1, v28, v35 op_sel:[0,0,1] op_sel_hi:[0,1,0] neg_lo:[0,1,0] neg_hi:[0,1,0]
	v_alignbit_b32 v50, s0, v50, 16
	v_add_f16_e32 v42, v55, v42
	v_fmac_f16_e32 v56, 0xbbf7, v17
	v_fma_f16 v49, v32, 0xbbdd, -v73
	v_pk_fma_f16 v54, 0xb836, v26, v33 op_sel:[0,0,1] op_sel_hi:[0,1,0]
	v_pk_mul_f16 v32, 0x39e9, v32 op_sel_hi:[0,1]
	v_pk_add_f16 v28, v24, v28 op_sel:[1,0] op_sel_hi:[0,1]
	v_pk_fma_f16 v27, 0x35c8, v27, v34 op_sel:[0,0,1] op_sel_hi:[0,1,0] neg_lo:[0,1,0] neg_hi:[0,1,0]
	v_pk_add_f16 v34, v24, v50
	v_alignbit_b32 v50, s0, v52, 16
	v_bfi_b32 v36, 0xffff, v37, v36
	v_add_f16_e32 v107, v147, v140
	v_add_f16_e32 v42, v56, v42
	v_fmac_f16_e32 v58, 0xb836, v16
	v_add_f16_e32 v48, v49, v48
	v_fma_f16 v49, v31, 0xbacd, -v74
	v_pk_add_f16 v51, v52, v51
	v_pk_fma_f16 v56, 0x3964, v25, v32 op_sel:[0,0,1] op_sel_hi:[0,1,0]
	v_pk_mul_f16 v31, 0xb8d2, v31 op_sel_hi:[0,1]
	v_pk_add_f16 v27, v27, v28
	v_pk_fma_f16 v26, 0xb836, v26, v33 op_sel:[0,0,1] op_sel_hi:[0,1,0] neg_lo:[0,1,0] neg_hi:[0,1,0]
	v_pk_add_f16 v28, v50, v34
	v_alignbit_b32 v33, s0, v54, 16
	v_pk_add_f16 v24, v24, v36
	v_bfi_b32 v13, 0xffff, v15, v13
	v_fmac_f16_e32 v117, 0xb836, v25
	v_add_f16_e32 v42, v58, v42
	v_add_f16_e32 v48, v49, v48
	v_fma_f16 v49, v30, 0xb461, -v80
	v_pack_b32_f16 v55, v137, v124
	v_pk_add_f16 v51, v54, v51
	v_pack_b32_f16 v57, v98, v107
	v_pk_fma_f16 v58, 0xba62, v19, v31 op_sel:[0,0,1] op_sel_hi:[0,1,0]
	v_pk_mul_f16 v30, 0x3722, v30 op_sel_hi:[0,1]
	v_pk_add_f16 v26, v26, v27
	v_pk_fma_f16 v25, 0x3964, v25, v32 op_sel:[0,0,1] op_sel_hi:[0,1,0] neg_lo:[0,1,0] neg_hi:[0,1,0]
	v_pk_add_f16 v27, v33, v28
	v_alignbit_b32 v28, s0, v56, 16
	v_pk_add_f16 v13, v13, v24
	v_bfi_b32 v10, 0xffff, v11, v10
	v_fmac_f16_e32 v120, 0x3bf7, v19
	v_add_f16_e32 v48, v49, v48
	v_fma_f16 v49, v29, 0x3722, -v81
	v_pk_add_f16 v51, v56, v51
	ds_write2_b32 v12, v57, v55 offset0:4 offset1:5
	v_pk_fma_f16 v55, 0x3b29, v18, v30 op_sel:[0,0,1] op_sel_hi:[0,1,0]
	v_pk_mul_f16 v29, 0xb461, v29 op_sel_hi:[0,1]
	v_pk_add_f16 v15, v25, v26
	v_pk_fma_f16 v19, 0xba62, v19, v31 op_sel:[0,0,1] op_sel_hi:[0,1,0] neg_lo:[0,1,0] neg_hi:[0,1,0]
	v_pk_add_f16 v25, v28, v27
	v_alignbit_b32 v26, s0, v58, 16
	v_add_f16_e32 v99, v117, v99
	v_pk_add_f16 v10, v10, v13
	v_bfi_b32 v8, 0xffff, v9, v8
	v_fmac_f16_e32 v114, 0xb964, v18
	v_add_f16_e32 v48, v49, v48
	v_fma_f16 v49, v14, 0x3b76, -v82
	v_pk_add_f16 v51, v58, v51
	v_pk_fma_f16 v57, 0xbbb2, v17, v29 op_sel:[0,0,1] op_sel_hi:[0,1,0]
	v_pk_mul_f16 v14, 0x2de8, v14 op_sel_hi:[0,1]
	v_pk_add_f16 v11, v19, v15
	v_pk_fma_f16 v15, 0x3b29, v18, v30 op_sel:[0,0,1] op_sel_hi:[0,1,0] neg_lo:[0,1,0] neg_hi:[0,1,0]
	v_pk_add_f16 v18, v26, v25
	v_alignbit_b32 v19, s0, v55, 16
	v_add_f16_e32 v99, v120, v99
	v_pk_add_f16 v8, v8, v10
	v_bfi_b32 v4, 0xffff, v4, v6
	v_pk_add_f16 v51, v55, v51
	v_pk_fma_f16 v34, 0x3bf7, v16, v14 op_sel:[0,0,1] op_sel_hi:[0,1,0]
	v_pk_add_f16 v9, v15, v11
	v_pk_fma_f16 v11, 0xbbb2, v17, v29 op_sel:[0,0,1] op_sel_hi:[0,1,0] neg_lo:[0,1,0] neg_hi:[0,1,0]
	v_pk_add_f16 v13, v19, v18
	v_alignbit_b32 v15, s0, v57, 16
	v_add_f16_e32 v99, v114, v99
	v_fmac_f16_e32 v130, 0xb1e1, v17
	v_pk_add_f16 v4, v4, v8
	v_bfi_b32 v5, 0xffff, v7, v5
	v_pk_add_f16 v51, v57, v51
	v_pk_add_f16 v6, v11, v9
	v_pk_fma_f16 v9, 0x3bf7, v16, v14 op_sel:[0,0,1] op_sel_hi:[0,1,0] neg_lo:[0,1,0] neg_hi:[0,1,0]
	v_pk_add_f16 v10, v15, v13
	v_alignbit_b32 v11, s0, v34, 16
	v_add_f16_e32 v99, v130, v99
	v_fmac_f16_e32 v129, 0x3b29, v16
	v_fmac_f16_e32 v126, 0xba62, v16
	;; [unrolled: 1-line block ×3, first 2 shown]
	v_pk_add_f16 v4, v5, v4
	v_bfi_b32 v5, 0xffff, v39, v38
	v_pk_add_f16 v7, v34, v51
	v_pk_add_f16 v6, v9, v6
	;; [unrolled: 1-line block ×3, first 2 shown]
	v_add_f16_e32 v99, v129, v99
	v_add_f16_e32 v53, v126, v95
	;; [unrolled: 1-line block ×4, first 2 shown]
	v_pk_add_f16 v4, v5, v4
	v_bfi_b32 v5, 0xffff, v41, v40
	v_pack_b32_f16 v49, v85, v84
	v_pack_b32_f16 v35, v121, v113
	v_alignbit_b32 v7, v7, v6, 16
	v_pack_b32_f16 v6, v8, v6
	v_pack_b32_f16 v8, v91, v99
	;; [unrolled: 1-line block ×7, first 2 shown]
	v_pk_add_f16 v4, v5, v4
	ds_write2_b32 v12, v35, v49 offset0:6 offset1:7
	ds_write2_b32 v12, v6, v7 offset0:8 offset1:9
	;; [unrolled: 1-line block ×5, first 2 shown]
	ds_write_b32 v12, v4 offset:64
.LBB0_18:
	s_or_b32 exec_lo, exec_lo, s1
	v_add_nc_u16 v6, v0, 34
	v_add_nc_u16 v7, v0, 0x44
	;; [unrolled: 1-line block ×4, first 2 shown]
	v_subrev_nc_u32_e32 v12, 17, v0
	v_and_b32_e32 v4, 0xff, v6
	v_and_b32_e32 v5, 0xff, v7
	;; [unrolled: 1-line block ×4, first 2 shown]
	v_cmp_gt_u32_e64 s0, 17, v0
	v_mul_lo_u16 v4, 0xf1, v4
	v_mul_lo_u16 v5, 0xf1, v5
	;; [unrolled: 1-line block ×4, first 2 shown]
	v_mov_b32_e32 v18, 2
	v_lshrrev_b16 v14, 12, v4
	v_lshrrev_b16 v15, 12, v5
	v_lshrrev_b16 v16, 12, v10
	v_lshrrev_b16 v17, 12, v11
	v_cndmask_b32_e64 v4, v12, v0, s0
	v_mul_lo_u16 v10, v14, 17
	v_mul_lo_u16 v11, v15, 17
	;; [unrolled: 1-line block ×4, first 2 shown]
	v_mov_b32_e32 v5, 0
	v_sub_nc_u16 v10, v6, v10
	v_sub_nc_u16 v11, v7, v11
	;; [unrolled: 1-line block ×4, first 2 shown]
	v_lshlrev_b64 v[6:7], 2, v[4:5]
	v_lshlrev_b32_sdwa v19, v18, v10 dst_sel:DWORD dst_unused:UNUSED_PAD src0_sel:DWORD src1_sel:BYTE_0
	v_lshlrev_b32_sdwa v24, v18, v11 dst_sel:DWORD dst_unused:UNUSED_PAD src0_sel:DWORD src1_sel:BYTE_0
	;; [unrolled: 1-line block ×4, first 2 shown]
	s_waitcnt lgkmcnt(0)
	v_add_co_u32 v6, s0, s8, v6
	v_add_co_ci_u32_e64 v7, s0, s9, v7, s0
	s_barrier
	buffer_gl0_inv
	s_clause 0x4
	global_load_dword v26, v18, s[8:9]
	global_load_dword v27, v25, s[8:9]
	;; [unrolled: 1-line block ×4, first 2 shown]
	global_load_dword v30, v[6:7], off
	v_add_nc_u32_e32 v31, 0x200, v1
	ds_read2_b32 v[6:7], v1 offset0:170 offset1:204
	ds_read2_b32 v[8:9], v1 offset0:34 offset1:68
	;; [unrolled: 1-line block ×3, first 2 shown]
	ds_read_b32 v34, v22
	ds_read_b32 v35, v1 offset:1224
	ds_read2_b32 v[12:13], v31 offset0:110 offset1:144
	v_cmp_lt_u32_e64 s0, 16, v0
	v_and_b32_e32 v16, 0xffff, v16
	v_and_b32_e32 v15, 0xffff, v15
	;; [unrolled: 1-line block ×4, first 2 shown]
	v_cndmask_b32_e64 v32, 0, 0x88, s0
	v_mad_u32_u24 v16, 0x88, v16, 0
	v_mad_u32_u24 v15, 0x88, v15, 0
	v_lshlrev_b32_e32 v4, 2, v4
	v_mad_u32_u24 v14, 0x88, v14, 0
	v_add_nc_u32_e32 v32, 0, v32
	v_mad_u32_u24 v17, 0x88, v17, 0
	v_add3_u32 v16, v16, v25, v23
	v_add3_u32 v15, v15, v24, v23
	;; [unrolled: 1-line block ×5, first 2 shown]
	v_mul_u32_u24_e32 v33, 9, v0
	s_waitcnt vmcnt(0) lgkmcnt(0)
	s_barrier
	buffer_gl0_inv
	v_lshlrev_b32_e32 v33, 2, v33
	v_pk_mul_f16 v18, v26, v35 op_sel:[0,1]
	v_pk_mul_f16 v19, v27, v13 op_sel:[0,1]
	;; [unrolled: 1-line block ×5, first 2 shown]
	v_pk_fma_f16 v32, v26, v35, v18 op_sel:[0,0,1] op_sel_hi:[1,1,0]
	v_pk_fma_f16 v36, v27, v13, v19 op_sel:[0,0,1] op_sel_hi:[1,1,0]
	;; [unrolled: 1-line block ×5, first 2 shown]
	v_pk_fma_f16 v6, v30, v6, v25 op_sel:[0,0,1] op_sel_hi:[1,0,0] neg_lo:[1,0,0] neg_hi:[1,0,0]
	v_pk_fma_f16 v7, v29, v7, v24 op_sel:[0,0,1] op_sel_hi:[1,0,0] neg_lo:[1,0,0] neg_hi:[1,0,0]
	;; [unrolled: 1-line block ×5, first 2 shown]
	v_bfi_b32 v6, 0xffff, v39, v6
	v_bfi_b32 v7, 0xffff, v38, v7
	;; [unrolled: 1-line block ×5, first 2 shown]
	v_pk_add_f16 v6, v34, v6 neg_lo:[0,1] neg_hi:[0,1]
	v_pk_add_f16 v7, v8, v7 neg_lo:[0,1] neg_hi:[0,1]
	;; [unrolled: 1-line block ×5, first 2 shown]
	v_pk_fma_f16 v19, v34, 2.0, v6 op_sel_hi:[1,0,1] neg_lo:[0,0,1] neg_hi:[0,0,1]
	v_pk_fma_f16 v8, v8, 2.0, v7 op_sel_hi:[1,0,1] neg_lo:[0,0,1] neg_hi:[0,0,1]
	;; [unrolled: 1-line block ×5, first 2 shown]
	ds_write2_b32 v4, v19, v6 offset1:17
	ds_write2_b32 v14, v8, v7 offset1:17
	;; [unrolled: 1-line block ×5, first 2 shown]
	s_waitcnt lgkmcnt(0)
	s_barrier
	buffer_gl0_inv
	s_clause 0x2
	global_load_dwordx4 v[6:9], v33, s[8:9] offset:68
	global_load_dwordx4 v[10:13], v33, s[8:9] offset:84
	global_load_dword v4, v33, s[8:9] offset:100
	ds_read_b32 v24, v22
	ds_read2_b32 v[14:15], v1 offset0:170 offset1:204
	ds_read2_b32 v[16:17], v31 offset0:110 offset1:144
	ds_read_b32 v25, v1 offset:1224
	ds_read2_b32 v[18:19], v1 offset0:34 offset1:68
	ds_read2_b32 v[22:23], v1 offset0:102 offset1:136
	s_waitcnt vmcnt(0) lgkmcnt(0)
	s_barrier
	buffer_gl0_inv
	v_lshrrev_b32_e32 v26, 16, v24
	v_lshrrev_b32_e32 v27, 16, v15
	;; [unrolled: 1-line block ×10, first 2 shown]
	v_mul_f16_sdwa v36, v6, v31 dst_sel:DWORD dst_unused:UNUSED_PAD src0_sel:WORD_1 src1_sel:DWORD
	v_mul_f16_sdwa v37, v6, v18 dst_sel:DWORD dst_unused:UNUSED_PAD src0_sel:WORD_1 src1_sel:DWORD
	;; [unrolled: 1-line block ×10, first 2 shown]
	v_mul_f16_sdwa v46, v27, v11 dst_sel:DWORD dst_unused:UNUSED_PAD src0_sel:DWORD src1_sel:WORD_1
	v_mul_f16_sdwa v47, v15, v11 dst_sel:DWORD dst_unused:UNUSED_PAD src0_sel:DWORD src1_sel:WORD_1
	;; [unrolled: 1-line block ×8, first 2 shown]
	v_fmac_f16_e32 v36, v6, v18
	v_fma_f16 v6, v6, v31, -v37
	v_fmac_f16_e32 v38, v7, v19
	v_fma_f16 v7, v7, v32, -v39
	;; [unrolled: 2-line block ×9, first 2 shown]
	v_sub_f16_e32 v18, v38, v42
	v_sub_f16_e32 v19, v50, v46
	;; [unrolled: 1-line block ×6, first 2 shown]
	v_add_f16_e32 v51, v6, v8
	v_add_f16_e32 v53, v10, v12
	;; [unrolled: 1-line block ×6, first 2 shown]
	v_sub_f16_e32 v29, v38, v50
	v_add_f16_e32 v35, v36, v40
	v_add_f16_e32 v37, v44, v48
	v_sub_f16_e32 v38, v8, v4
	v_sub_f16_e32 v39, v10, v12
	;; [unrolled: 1-line block ×3, first 2 shown]
	v_add_f16_e32 v45, v40, v52
	v_sub_f16_e32 v47, v44, v40
	v_sub_f16_e32 v40, v40, v52
	v_sub_f16_e32 v55, v8, v10
	v_sub_f16_e32 v8, v10, v8
	v_add_f16_e32 v18, v18, v19
	v_add_f16_e32 v19, v23, v25
	;; [unrolled: 1-line block ×4, first 2 shown]
	v_fma_f16 v32, -0.5, v53, v6
	v_add_f16_e32 v15, v42, v46
	v_add_f16_e32 v28, v9, v11
	;; [unrolled: 1-line block ×3, first 2 shown]
	v_sub_f16_e32 v43, v52, v48
	v_sub_f16_e32 v54, v44, v48
	v_fmac_f16_e32 v6, -0.5, v57
	v_sub_f16_e32 v16, v7, v13
	v_sub_f16_e32 v17, v9, v11
	;; [unrolled: 1-line block ×5, first 2 shown]
	v_add_f16_e32 v9, v27, v9
	v_fma_f16 v27, -0.5, v37, v36
	v_add_f16_e32 v10, v10, v12
	v_fmamk_f16 v12, v40, 0x3b9c, v32
	v_sub_f16_e32 v30, v42, v46
	v_add_f16_e32 v14, v14, v42
	v_fma_f16 v15, -0.5, v15, v24
	v_fmac_f16_e32 v24, -0.5, v22
	v_fma_f16 v22, -0.5, v28, v26
	v_fmac_f16_e32 v26, -0.5, v33
	v_add_f16_e32 v25, v35, v44
	v_add_f16_e32 v28, v41, v43
	v_fmac_f16_e32 v36, -0.5, v45
	v_fmamk_f16 v43, v54, 0xbb9c, v6
	v_fmac_f16_e32 v6, 0x3b9c, v54
	v_sub_f16_e32 v34, v11, v13
	v_fmac_f16_e32 v32, 0xbb9c, v40
	v_add_f16_e32 v33, v55, v56
	v_add_f16_e32 v9, v9, v11
	v_fmamk_f16 v41, v38, 0xbb9c, v27
	v_fmac_f16_e32 v12, 0x38b4, v54
	v_sub_f16_e32 v49, v48, v52
	v_add_f16_e32 v8, v8, v58
	v_add_f16_e32 v14, v14, v46
	v_fmamk_f16 v37, v30, 0xbb9c, v26
	v_fmac_f16_e32 v26, 0x3b9c, v30
	v_add_f16_e32 v25, v25, v48
	v_fmamk_f16 v42, v39, 0x3b9c, v36
	v_fmac_f16_e32 v36, 0xbb9c, v39
	v_fmac_f16_e32 v43, 0x38b4, v40
	;; [unrolled: 1-line block ×3, first 2 shown]
	v_add_f16_e32 v7, v7, v34
	v_fmamk_f16 v34, v16, 0xbb9c, v15
	v_fmac_f16_e32 v15, 0x3b9c, v16
	v_fmac_f16_e32 v27, 0x3b9c, v38
	v_fmac_f16_e32 v32, 0xb8b4, v54
	v_fmamk_f16 v11, v29, 0x3b9c, v22
	v_add_f16_e32 v9, v9, v13
	v_fmac_f16_e32 v41, 0xb8b4, v39
	v_add_f16_e32 v4, v10, v4
	v_fmac_f16_e32 v12, 0x34f2, v33
	v_add_f16_e32 v31, v47, v49
	v_fmamk_f16 v35, v17, 0x3b9c, v24
	v_fmac_f16_e32 v24, 0xbb9c, v17
	v_add_f16_e32 v14, v14, v50
	v_fmac_f16_e32 v37, 0x38b4, v29
	v_fmac_f16_e32 v26, 0xb8b4, v29
	v_add_f16_e32 v13, v25, v52
	v_fmac_f16_e32 v42, 0xb8b4, v38
	v_fmac_f16_e32 v36, 0x38b4, v38
	;; [unrolled: 1-line block ×11, first 2 shown]
	v_add_f16_e32 v8, v9, v4
	v_sub_f16_e32 v4, v9, v4
	v_mul_f16_e32 v9, 0xb8b4, v12
	v_mul_f16_e32 v12, 0x3a79, v12
	v_fmac_f16_e32 v35, 0xb8b4, v16
	v_fmac_f16_e32 v24, 0x38b4, v16
	;; [unrolled: 1-line block ×6, first 2 shown]
	v_add_f16_e32 v7, v14, v13
	v_sub_f16_e32 v10, v14, v13
	v_mul_f16_e32 v13, 0xbb9c, v43
	v_mul_f16_e32 v14, 0xbb9c, v6
	;; [unrolled: 1-line block ×4, first 2 shown]
	v_fmac_f16_e32 v22, 0xb8b4, v30
	v_fmac_f16_e32 v34, 0x34f2, v18
	;; [unrolled: 1-line block ×4, first 2 shown]
	v_mul_f16_e32 v16, 0xb8b4, v32
	v_mul_f16_e32 v18, 0xba79, v32
	v_fmac_f16_e32 v11, 0x34f2, v23
	v_fmac_f16_e32 v9, 0x3a79, v41
	;; [unrolled: 1-line block ×12, first 2 shown]
	v_pack_b32_f16 v7, v7, v8
	v_add_f16_e32 v8, v34, v9
	v_add_f16_e32 v25, v11, v12
	v_pack_b32_f16 v4, v10, v4
	v_add_f16_e32 v10, v35, v13
	v_add_f16_e32 v19, v24, v14
	;; [unrolled: 1-line block ×6, first 2 shown]
	v_sub_f16_e32 v9, v34, v9
	v_sub_f16_e32 v13, v35, v13
	;; [unrolled: 1-line block ×8, first 2 shown]
	v_pack_b32_f16 v8, v8, v25
	v_pack_b32_f16 v10, v10, v27
	v_pack_b32_f16 v17, v19, v28
	v_pack_b32_f16 v18, v23, v29
	v_pack_b32_f16 v9, v9, v11
	v_pack_b32_f16 v11, v13, v12
	v_pack_b32_f16 v6, v14, v6
	v_pack_b32_f16 v12, v15, v16
	ds_write2_b32 v1, v7, v8 offset1:34
	ds_write2_b32 v1, v10, v17 offset0:68 offset1:102
	ds_write2_b32 v1, v18, v4 offset0:136 offset1:170
	;; [unrolled: 1-line block ×4, first 2 shown]
	s_waitcnt lgkmcnt(0)
	s_barrier
	buffer_gl0_inv
	s_and_saveexec_b32 s0, vcc_lo
	s_cbranch_execz .LBB0_20
; %bb.19:
	v_lshl_add_u32 v20, v0, 2, v20
	v_add_nc_u32_e32 v4, 34, v0
	v_mov_b32_e32 v1, v5
	v_add_co_u32 v21, vcc_lo, s2, v2
	ds_read2_b32 v[6:7], v20 offset1:34
	v_lshlrev_b64 v[8:9], 2, v[4:5]
	v_add_nc_u32_e32 v4, 0x44, v0
	v_lshlrev_b64 v[1:2], 2, v[0:1]
	v_add_co_ci_u32_e32 v22, vcc_lo, s3, v3, vcc_lo
	ds_read2_b32 v[10:11], v20 offset0:68 offset1:102
	ds_read2_b32 v[12:13], v20 offset0:136 offset1:170
	v_lshlrev_b64 v[14:15], 2, v[4:5]
	v_add_nc_u32_e32 v4, 0x66, v0
	v_add_co_u32 v1, vcc_lo, v21, v1
	v_add_co_ci_u32_e32 v2, vcc_lo, v22, v2, vcc_lo
	v_add_co_u32 v8, vcc_lo, v21, v8
	v_lshlrev_b64 v[16:17], 2, v[4:5]
	v_add_nc_u32_e32 v4, 0x88, v0
	v_add_co_ci_u32_e32 v9, vcc_lo, v22, v9, vcc_lo
	v_add_nc_u32_e32 v3, 0x400, v20
	s_waitcnt lgkmcnt(2)
	global_store_dword v[1:2], v6, off
	v_add_co_u32 v1, vcc_lo, v21, v14
	v_add_co_ci_u32_e32 v2, vcc_lo, v22, v15, vcc_lo
	v_lshlrev_b64 v[14:15], 2, v[4:5]
	v_add_nc_u32_e32 v4, 0xaa, v0
	v_add_co_u32 v16, vcc_lo, v21, v16
	v_add_co_ci_u32_e32 v17, vcc_lo, v22, v17, vcc_lo
	v_lshlrev_b64 v[18:19], 2, v[4:5]
	v_add_nc_u32_e32 v4, 0xcc, v0
	v_add_co_u32 v14, vcc_lo, v21, v14
	v_add_co_ci_u32_e32 v15, vcc_lo, v22, v15, vcc_lo
	global_store_dword v[8:9], v7, off
	s_waitcnt lgkmcnt(1)
	global_store_dword v[1:2], v10, off
	global_store_dword v[16:17], v11, off
	s_waitcnt lgkmcnt(0)
	global_store_dword v[14:15], v12, off
	v_lshlrev_b64 v[1:2], 2, v[4:5]
	v_add_nc_u32_e32 v4, 0xee, v0
	ds_read2_b32 v[8:9], v20 offset0:204 offset1:238
	ds_read2_b32 v[14:15], v3 offset0:16 offset1:50
	v_add_co_u32 v6, vcc_lo, v21, v18
	v_lshlrev_b64 v[10:11], 2, v[4:5]
	v_add_nc_u32_e32 v4, 0x110, v0
	v_add_co_ci_u32_e32 v7, vcc_lo, v22, v19, vcc_lo
	v_add_co_u32 v1, vcc_lo, v21, v1
	v_lshlrev_b64 v[16:17], 2, v[4:5]
	v_add_nc_u32_e32 v4, 0x132, v0
	v_add_co_ci_u32_e32 v2, vcc_lo, v22, v2, vcc_lo
	v_add_co_u32 v10, vcc_lo, v21, v10
	v_lshlrev_b64 v[3:4], 2, v[4:5]
	v_add_co_ci_u32_e32 v11, vcc_lo, v22, v11, vcc_lo
	v_add_co_u32 v16, vcc_lo, v21, v16
	v_add_co_ci_u32_e32 v17, vcc_lo, v22, v17, vcc_lo
	v_add_co_u32 v3, vcc_lo, v21, v3
	v_add_co_ci_u32_e32 v4, vcc_lo, v22, v4, vcc_lo
	global_store_dword v[6:7], v13, off
	s_waitcnt lgkmcnt(1)
	global_store_dword v[1:2], v8, off
	global_store_dword v[10:11], v9, off
	s_waitcnt lgkmcnt(0)
	global_store_dword v[16:17], v14, off
	global_store_dword v[3:4], v15, off
.LBB0_20:
	s_endpgm
	.section	.rodata,"a",@progbits
	.p2align	6, 0x0
	.amdhsa_kernel fft_rtc_back_len340_factors_17_2_10_wgs_102_tpt_34_halfLds_half_ip_CI_unitstride_sbrr_C2R_dirReg
		.amdhsa_group_segment_fixed_size 0
		.amdhsa_private_segment_fixed_size 0
		.amdhsa_kernarg_size 88
		.amdhsa_user_sgpr_count 6
		.amdhsa_user_sgpr_private_segment_buffer 1
		.amdhsa_user_sgpr_dispatch_ptr 0
		.amdhsa_user_sgpr_queue_ptr 0
		.amdhsa_user_sgpr_kernarg_segment_ptr 1
		.amdhsa_user_sgpr_dispatch_id 0
		.amdhsa_user_sgpr_flat_scratch_init 0
		.amdhsa_user_sgpr_private_segment_size 0
		.amdhsa_wavefront_size32 1
		.amdhsa_uses_dynamic_stack 0
		.amdhsa_system_sgpr_private_segment_wavefront_offset 0
		.amdhsa_system_sgpr_workgroup_id_x 1
		.amdhsa_system_sgpr_workgroup_id_y 0
		.amdhsa_system_sgpr_workgroup_id_z 0
		.amdhsa_system_sgpr_workgroup_info 0
		.amdhsa_system_vgpr_workitem_id 0
		.amdhsa_next_free_vgpr 149
		.amdhsa_next_free_sgpr 21
		.amdhsa_reserve_vcc 1
		.amdhsa_reserve_flat_scratch 0
		.amdhsa_float_round_mode_32 0
		.amdhsa_float_round_mode_16_64 0
		.amdhsa_float_denorm_mode_32 3
		.amdhsa_float_denorm_mode_16_64 3
		.amdhsa_dx10_clamp 1
		.amdhsa_ieee_mode 1
		.amdhsa_fp16_overflow 0
		.amdhsa_workgroup_processor_mode 1
		.amdhsa_memory_ordered 1
		.amdhsa_forward_progress 0
		.amdhsa_shared_vgpr_count 0
		.amdhsa_exception_fp_ieee_invalid_op 0
		.amdhsa_exception_fp_denorm_src 0
		.amdhsa_exception_fp_ieee_div_zero 0
		.amdhsa_exception_fp_ieee_overflow 0
		.amdhsa_exception_fp_ieee_underflow 0
		.amdhsa_exception_fp_ieee_inexact 0
		.amdhsa_exception_int_div_zero 0
	.end_amdhsa_kernel
	.text
.Lfunc_end0:
	.size	fft_rtc_back_len340_factors_17_2_10_wgs_102_tpt_34_halfLds_half_ip_CI_unitstride_sbrr_C2R_dirReg, .Lfunc_end0-fft_rtc_back_len340_factors_17_2_10_wgs_102_tpt_34_halfLds_half_ip_CI_unitstride_sbrr_C2R_dirReg
                                        ; -- End function
	.section	.AMDGPU.csdata,"",@progbits
; Kernel info:
; codeLenInByte = 10384
; NumSgprs: 23
; NumVgprs: 149
; ScratchSize: 0
; MemoryBound: 0
; FloatMode: 240
; IeeeMode: 1
; LDSByteSize: 0 bytes/workgroup (compile time only)
; SGPRBlocks: 2
; VGPRBlocks: 18
; NumSGPRsForWavesPerEU: 23
; NumVGPRsForWavesPerEU: 149
; Occupancy: 6
; WaveLimiterHint : 1
; COMPUTE_PGM_RSRC2:SCRATCH_EN: 0
; COMPUTE_PGM_RSRC2:USER_SGPR: 6
; COMPUTE_PGM_RSRC2:TRAP_HANDLER: 0
; COMPUTE_PGM_RSRC2:TGID_X_EN: 1
; COMPUTE_PGM_RSRC2:TGID_Y_EN: 0
; COMPUTE_PGM_RSRC2:TGID_Z_EN: 0
; COMPUTE_PGM_RSRC2:TIDIG_COMP_CNT: 0
	.text
	.p2alignl 6, 3214868480
	.fill 48, 4, 3214868480
	.type	__hip_cuid_b31c2f482c6f547d,@object ; @__hip_cuid_b31c2f482c6f547d
	.section	.bss,"aw",@nobits
	.globl	__hip_cuid_b31c2f482c6f547d
__hip_cuid_b31c2f482c6f547d:
	.byte	0                               ; 0x0
	.size	__hip_cuid_b31c2f482c6f547d, 1

	.ident	"AMD clang version 19.0.0git (https://github.com/RadeonOpenCompute/llvm-project roc-6.4.0 25133 c7fe45cf4b819c5991fe208aaa96edf142730f1d)"
	.section	".note.GNU-stack","",@progbits
	.addrsig
	.addrsig_sym __hip_cuid_b31c2f482c6f547d
	.amdgpu_metadata
---
amdhsa.kernels:
  - .args:
      - .actual_access:  read_only
        .address_space:  global
        .offset:         0
        .size:           8
        .value_kind:     global_buffer
      - .offset:         8
        .size:           8
        .value_kind:     by_value
      - .actual_access:  read_only
        .address_space:  global
        .offset:         16
        .size:           8
        .value_kind:     global_buffer
      - .actual_access:  read_only
        .address_space:  global
        .offset:         24
        .size:           8
        .value_kind:     global_buffer
      - .offset:         32
        .size:           8
        .value_kind:     by_value
      - .actual_access:  read_only
        .address_space:  global
        .offset:         40
        .size:           8
        .value_kind:     global_buffer
      - .actual_access:  read_only
        .address_space:  global
        .offset:         48
        .size:           8
        .value_kind:     global_buffer
      - .offset:         56
        .size:           4
        .value_kind:     by_value
      - .actual_access:  read_only
        .address_space:  global
        .offset:         64
        .size:           8
        .value_kind:     global_buffer
      - .actual_access:  read_only
        .address_space:  global
        .offset:         72
        .size:           8
        .value_kind:     global_buffer
      - .address_space:  global
        .offset:         80
        .size:           8
        .value_kind:     global_buffer
    .group_segment_fixed_size: 0
    .kernarg_segment_align: 8
    .kernarg_segment_size: 88
    .language:       OpenCL C
    .language_version:
      - 2
      - 0
    .max_flat_workgroup_size: 102
    .name:           fft_rtc_back_len340_factors_17_2_10_wgs_102_tpt_34_halfLds_half_ip_CI_unitstride_sbrr_C2R_dirReg
    .private_segment_fixed_size: 0
    .sgpr_count:     23
    .sgpr_spill_count: 0
    .symbol:         fft_rtc_back_len340_factors_17_2_10_wgs_102_tpt_34_halfLds_half_ip_CI_unitstride_sbrr_C2R_dirReg.kd
    .uniform_work_group_size: 1
    .uses_dynamic_stack: false
    .vgpr_count:     149
    .vgpr_spill_count: 0
    .wavefront_size: 32
    .workgroup_processor_mode: 1
amdhsa.target:   amdgcn-amd-amdhsa--gfx1030
amdhsa.version:
  - 1
  - 2
...

	.end_amdgpu_metadata
